;; amdgpu-corpus repo=ROCm/rocFFT kind=compiled arch=gfx906 opt=O3
	.text
	.amdgcn_target "amdgcn-amd-amdhsa--gfx906"
	.amdhsa_code_object_version 6
	.protected	fft_rtc_fwd_len3240_factors_3_3_10_6_6_wgs_108_tpt_108_halfLds_sp_op_CI_CI_unitstride_sbrr_dirReg ; -- Begin function fft_rtc_fwd_len3240_factors_3_3_10_6_6_wgs_108_tpt_108_halfLds_sp_op_CI_CI_unitstride_sbrr_dirReg
	.globl	fft_rtc_fwd_len3240_factors_3_3_10_6_6_wgs_108_tpt_108_halfLds_sp_op_CI_CI_unitstride_sbrr_dirReg
	.p2align	8
	.type	fft_rtc_fwd_len3240_factors_3_3_10_6_6_wgs_108_tpt_108_halfLds_sp_op_CI_CI_unitstride_sbrr_dirReg,@function
fft_rtc_fwd_len3240_factors_3_3_10_6_6_wgs_108_tpt_108_halfLds_sp_op_CI_CI_unitstride_sbrr_dirReg: ; @fft_rtc_fwd_len3240_factors_3_3_10_6_6_wgs_108_tpt_108_halfLds_sp_op_CI_CI_unitstride_sbrr_dirReg
; %bb.0:
	s_load_dwordx4 s[8:11], s[4:5], 0x58
	s_load_dwordx4 s[12:15], s[4:5], 0x0
	;; [unrolled: 1-line block ×3, first 2 shown]
	v_mul_u32_u24_e32 v1, 0x25f, v0
	v_mov_b32_e32 v5, 0
	v_mov_b32_e32 v7, 0
	s_waitcnt lgkmcnt(0)
	v_cmp_lt_u64_e64 s[0:1], s[14:15], 2
	v_add_u32_sdwa v9, s6, v1 dst_sel:DWORD dst_unused:UNUSED_PAD src0_sel:DWORD src1_sel:WORD_1
	v_mov_b32_e32 v10, v5
	s_and_b64 vcc, exec, s[0:1]
	v_mov_b32_e32 v8, 0
	s_cbranch_vccnz .LBB0_8
; %bb.1:
	s_load_dwordx2 s[0:1], s[4:5], 0x10
	s_add_u32 s2, s18, 8
	s_addc_u32 s3, s19, 0
	s_add_u32 s6, s16, 8
	s_addc_u32 s7, s17, 0
	v_mov_b32_e32 v7, 0
	s_waitcnt lgkmcnt(0)
	s_add_u32 s20, s0, 8
	v_mov_b32_e32 v8, 0
	v_mov_b32_e32 v1, v7
	s_addc_u32 s21, s1, 0
	s_mov_b64 s[22:23], 1
	v_mov_b32_e32 v2, v8
.LBB0_2:                                ; =>This Inner Loop Header: Depth=1
	s_load_dwordx2 s[24:25], s[20:21], 0x0
                                        ; implicit-def: $vgpr3_vgpr4
	s_waitcnt lgkmcnt(0)
	v_or_b32_e32 v6, s25, v10
	v_cmp_ne_u64_e32 vcc, 0, v[5:6]
	s_and_saveexec_b64 s[0:1], vcc
	s_xor_b64 s[26:27], exec, s[0:1]
	s_cbranch_execz .LBB0_4
; %bb.3:                                ;   in Loop: Header=BB0_2 Depth=1
	v_cvt_f32_u32_e32 v3, s24
	v_cvt_f32_u32_e32 v4, s25
	s_sub_u32 s0, 0, s24
	s_subb_u32 s1, 0, s25
	v_mac_f32_e32 v3, 0x4f800000, v4
	v_rcp_f32_e32 v3, v3
	v_mul_f32_e32 v3, 0x5f7ffffc, v3
	v_mul_f32_e32 v4, 0x2f800000, v3
	v_trunc_f32_e32 v4, v4
	v_mac_f32_e32 v3, 0xcf800000, v4
	v_cvt_u32_f32_e32 v4, v4
	v_cvt_u32_f32_e32 v3, v3
	v_mul_lo_u32 v6, s0, v4
	v_mul_hi_u32 v11, s0, v3
	v_mul_lo_u32 v13, s1, v3
	v_mul_lo_u32 v12, s0, v3
	v_add_u32_e32 v6, v11, v6
	v_add_u32_e32 v6, v6, v13
	v_mul_hi_u32 v11, v3, v12
	v_mul_lo_u32 v13, v3, v6
	v_mul_hi_u32 v15, v3, v6
	v_mul_hi_u32 v14, v4, v12
	v_mul_lo_u32 v12, v4, v12
	v_mul_hi_u32 v16, v4, v6
	v_add_co_u32_e32 v11, vcc, v11, v13
	v_addc_co_u32_e32 v13, vcc, 0, v15, vcc
	v_mul_lo_u32 v6, v4, v6
	v_add_co_u32_e32 v11, vcc, v11, v12
	v_addc_co_u32_e32 v11, vcc, v13, v14, vcc
	v_addc_co_u32_e32 v12, vcc, 0, v16, vcc
	v_add_co_u32_e32 v6, vcc, v11, v6
	v_addc_co_u32_e32 v11, vcc, 0, v12, vcc
	v_add_co_u32_e32 v3, vcc, v3, v6
	v_addc_co_u32_e32 v4, vcc, v4, v11, vcc
	v_mul_lo_u32 v6, s0, v4
	v_mul_hi_u32 v11, s0, v3
	v_mul_lo_u32 v12, s1, v3
	v_mul_lo_u32 v13, s0, v3
	v_add_u32_e32 v6, v11, v6
	v_add_u32_e32 v6, v6, v12
	v_mul_lo_u32 v14, v3, v6
	v_mul_hi_u32 v15, v3, v13
	v_mul_hi_u32 v16, v3, v6
	v_mul_hi_u32 v12, v4, v13
	v_mul_lo_u32 v13, v4, v13
	v_mul_hi_u32 v11, v4, v6
	v_add_co_u32_e32 v14, vcc, v15, v14
	v_addc_co_u32_e32 v15, vcc, 0, v16, vcc
	v_mul_lo_u32 v6, v4, v6
	v_add_co_u32_e32 v13, vcc, v14, v13
	v_addc_co_u32_e32 v12, vcc, v15, v12, vcc
	v_addc_co_u32_e32 v11, vcc, 0, v11, vcc
	v_add_co_u32_e32 v6, vcc, v12, v6
	v_addc_co_u32_e32 v11, vcc, 0, v11, vcc
	v_add_co_u32_e32 v6, vcc, v3, v6
	v_addc_co_u32_e32 v11, vcc, v4, v11, vcc
	v_mad_u64_u32 v[3:4], s[0:1], v9, v11, 0
	v_mul_hi_u32 v12, v9, v6
	v_add_co_u32_e32 v13, vcc, v12, v3
	v_addc_co_u32_e32 v14, vcc, 0, v4, vcc
	v_mad_u64_u32 v[3:4], s[0:1], v10, v6, 0
	v_mad_u64_u32 v[11:12], s[0:1], v10, v11, 0
	v_add_co_u32_e32 v3, vcc, v13, v3
	v_addc_co_u32_e32 v3, vcc, v14, v4, vcc
	v_addc_co_u32_e32 v4, vcc, 0, v12, vcc
	v_add_co_u32_e32 v6, vcc, v3, v11
	v_addc_co_u32_e32 v11, vcc, 0, v4, vcc
	v_mul_lo_u32 v12, s25, v6
	v_mul_lo_u32 v13, s24, v11
	v_mad_u64_u32 v[3:4], s[0:1], s24, v6, 0
	v_add3_u32 v4, v4, v13, v12
	v_sub_u32_e32 v12, v10, v4
	v_mov_b32_e32 v13, s25
	v_sub_co_u32_e32 v3, vcc, v9, v3
	v_subb_co_u32_e64 v12, s[0:1], v12, v13, vcc
	v_subrev_co_u32_e64 v13, s[0:1], s24, v3
	v_subbrev_co_u32_e64 v12, s[0:1], 0, v12, s[0:1]
	v_cmp_le_u32_e64 s[0:1], s25, v12
	v_cndmask_b32_e64 v14, 0, -1, s[0:1]
	v_cmp_le_u32_e64 s[0:1], s24, v13
	v_cndmask_b32_e64 v13, 0, -1, s[0:1]
	v_cmp_eq_u32_e64 s[0:1], s25, v12
	v_cndmask_b32_e64 v12, v14, v13, s[0:1]
	v_add_co_u32_e64 v13, s[0:1], 2, v6
	v_addc_co_u32_e64 v14, s[0:1], 0, v11, s[0:1]
	v_add_co_u32_e64 v15, s[0:1], 1, v6
	v_addc_co_u32_e64 v16, s[0:1], 0, v11, s[0:1]
	v_subb_co_u32_e32 v4, vcc, v10, v4, vcc
	v_cmp_ne_u32_e64 s[0:1], 0, v12
	v_cmp_le_u32_e32 vcc, s25, v4
	v_cndmask_b32_e64 v12, v16, v14, s[0:1]
	v_cndmask_b32_e64 v14, 0, -1, vcc
	v_cmp_le_u32_e32 vcc, s24, v3
	v_cndmask_b32_e64 v3, 0, -1, vcc
	v_cmp_eq_u32_e32 vcc, s25, v4
	v_cndmask_b32_e32 v3, v14, v3, vcc
	v_cmp_ne_u32_e32 vcc, 0, v3
	v_cndmask_b32_e64 v3, v15, v13, s[0:1]
	v_cndmask_b32_e32 v4, v11, v12, vcc
	v_cndmask_b32_e32 v3, v6, v3, vcc
.LBB0_4:                                ;   in Loop: Header=BB0_2 Depth=1
	s_andn2_saveexec_b64 s[0:1], s[26:27]
	s_cbranch_execz .LBB0_6
; %bb.5:                                ;   in Loop: Header=BB0_2 Depth=1
	v_cvt_f32_u32_e32 v3, s24
	s_sub_i32 s26, 0, s24
	v_rcp_iflag_f32_e32 v3, v3
	v_mul_f32_e32 v3, 0x4f7ffffe, v3
	v_cvt_u32_f32_e32 v3, v3
	v_mul_lo_u32 v4, s26, v3
	v_mul_hi_u32 v4, v3, v4
	v_add_u32_e32 v3, v3, v4
	v_mul_hi_u32 v3, v9, v3
	v_mul_lo_u32 v4, v3, s24
	v_add_u32_e32 v6, 1, v3
	v_sub_u32_e32 v4, v9, v4
	v_subrev_u32_e32 v11, s24, v4
	v_cmp_le_u32_e32 vcc, s24, v4
	v_cndmask_b32_e32 v4, v4, v11, vcc
	v_cndmask_b32_e32 v3, v3, v6, vcc
	v_add_u32_e32 v6, 1, v3
	v_cmp_le_u32_e32 vcc, s24, v4
	v_cndmask_b32_e32 v3, v3, v6, vcc
	v_mov_b32_e32 v4, v5
.LBB0_6:                                ;   in Loop: Header=BB0_2 Depth=1
	s_or_b64 exec, exec, s[0:1]
	v_mul_lo_u32 v6, v4, s24
	v_mul_lo_u32 v13, v3, s25
	v_mad_u64_u32 v[11:12], s[0:1], v3, s24, 0
	s_load_dwordx2 s[0:1], s[6:7], 0x0
	s_load_dwordx2 s[24:25], s[2:3], 0x0
	v_add3_u32 v6, v12, v13, v6
	v_sub_co_u32_e32 v9, vcc, v9, v11
	v_subb_co_u32_e32 v6, vcc, v10, v6, vcc
	s_waitcnt lgkmcnt(0)
	v_mul_lo_u32 v10, s0, v6
	v_mul_lo_u32 v11, s1, v9
	v_mad_u64_u32 v[7:8], s[0:1], s0, v9, v[7:8]
	s_add_u32 s22, s22, 1
	s_addc_u32 s23, s23, 0
	s_add_u32 s2, s2, 8
	v_mul_lo_u32 v6, s24, v6
	v_mul_lo_u32 v12, s25, v9
	v_mad_u64_u32 v[1:2], s[0:1], s24, v9, v[1:2]
	v_add3_u32 v8, v11, v8, v10
	s_addc_u32 s3, s3, 0
	v_mov_b32_e32 v9, s14
	s_add_u32 s6, s6, 8
	v_mov_b32_e32 v10, s15
	s_addc_u32 s7, s7, 0
	v_cmp_ge_u64_e32 vcc, s[22:23], v[9:10]
	s_add_u32 s20, s20, 8
	v_add3_u32 v2, v12, v2, v6
	s_addc_u32 s21, s21, 0
	s_cbranch_vccnz .LBB0_9
; %bb.7:                                ;   in Loop: Header=BB0_2 Depth=1
	v_mov_b32_e32 v10, v4
	v_mov_b32_e32 v9, v3
	s_branch .LBB0_2
.LBB0_8:
	v_mov_b32_e32 v1, v7
	v_mov_b32_e32 v3, v9
	;; [unrolled: 1-line block ×4, first 2 shown]
.LBB0_9:
	s_load_dwordx2 s[4:5], s[4:5], 0x28
	s_lshl_b64 s[6:7], s[14:15], 3
	s_add_u32 s2, s18, s6
	s_addc_u32 s3, s19, s7
                                        ; implicit-def: $vgpr66
	s_waitcnt lgkmcnt(0)
	v_cmp_gt_u64_e64 s[0:1], s[4:5], v[3:4]
	v_cmp_le_u64_e32 vcc, s[4:5], v[3:4]
	s_and_saveexec_b64 s[4:5], vcc
	s_xor_b64 s[4:5], exec, s[4:5]
; %bb.10:
	s_mov_b32 s14, 0x25ed098
	v_mul_hi_u32 v5, v0, s14
                                        ; implicit-def: $vgpr7_vgpr8
	v_mul_u32_u24_e32 v5, 0x6c, v5
	v_sub_u32_e32 v66, v0, v5
                                        ; implicit-def: $vgpr0
; %bb.11:
	s_or_saveexec_b64 s[4:5], s[4:5]
                                        ; implicit-def: $vgpr11
                                        ; implicit-def: $vgpr6
                                        ; implicit-def: $vgpr17
                                        ; implicit-def: $vgpr9
                                        ; implicit-def: $vgpr35
                                        ; implicit-def: $vgpr19
                                        ; implicit-def: $vgpr13
                                        ; implicit-def: $vgpr37
                                        ; implicit-def: $vgpr21
                                        ; implicit-def: $vgpr39
                                        ; implicit-def: $vgpr43
                                        ; implicit-def: $vgpr23
                                        ; implicit-def: $vgpr45
                                        ; implicit-def: $vgpr49
                                        ; implicit-def: $vgpr25
                                        ; implicit-def: $vgpr53
                                        ; implicit-def: $vgpr41
                                        ; implicit-def: $vgpr15
                                        ; implicit-def: $vgpr57
                                        ; implicit-def: $vgpr47
                                        ; implicit-def: $vgpr27
                                        ; implicit-def: $vgpr61
                                        ; implicit-def: $vgpr51
                                        ; implicit-def: $vgpr29
                                        ; implicit-def: $vgpr63
                                        ; implicit-def: $vgpr55
                                        ; implicit-def: $vgpr31
                                        ; implicit-def: $vgpr65
                                        ; implicit-def: $vgpr59
                                        ; implicit-def: $vgpr33
	s_xor_b64 exec, exec, s[4:5]
	s_cbranch_execz .LBB0_13
; %bb.12:
	s_add_u32 s6, s16, s6
	s_addc_u32 s7, s17, s7
	s_load_dwordx2 s[6:7], s[6:7], 0x0
	s_mov_b32 s14, 0x25ed098
	v_mul_hi_u32 v9, v0, s14
	s_waitcnt lgkmcnt(0)
	v_mul_lo_u32 v10, s7, v3
	v_mul_lo_u32 v11, s6, v4
	v_mad_u64_u32 v[5:6], s[6:7], s6, v3, 0
	v_mul_u32_u24_e32 v9, 0x6c, v9
	v_sub_u32_e32 v66, v0, v9
	v_add3_u32 v6, v6, v11, v10
	v_lshlrev_b64 v[5:6], 3, v[5:6]
	v_mov_b32_e32 v0, s9
	v_add_co_u32_e32 v9, vcc, s8, v5
	v_addc_co_u32_e32 v0, vcc, v0, v6, vcc
	v_lshlrev_b64 v[5:6], 3, v[7:8]
	s_movk_i32 s6, 0x2000
	v_add_co_u32_e32 v5, vcc, v9, v5
	v_addc_co_u32_e32 v0, vcc, v0, v6, vcc
	v_lshlrev_b32_e32 v6, 3, v66
	v_add_co_u32_e32 v5, vcc, v5, v6
	v_addc_co_u32_e32 v6, vcc, 0, v0, vcc
	v_add_co_u32_e32 v7, vcc, s6, v5
	v_addc_co_u32_e32 v8, vcc, 0, v6, vcc
	s_movk_i32 s6, 0x4000
	v_add_co_u32_e32 v67, vcc, s6, v5
	v_addc_co_u32_e32 v68, vcc, 0, v6, vcc
	s_movk_i32 s6, 0x5000
	;; [unrolled: 3-line block ×4, first 2 shown]
	v_add_co_u32_e32 v69, vcc, s6, v5
	v_addc_co_u32_e32 v70, vcc, 0, v6, vcc
	v_add_co_u32_e32 v71, vcc, 0x6000, v5
	global_load_dwordx2 v[50:51], v[7:8], off offset:2176
	global_load_dwordx2 v[32:33], v[5:6], off
	global_load_dwordx2 v[30:31], v[5:6], off offset:864
	global_load_dwordx2 v[28:29], v[5:6], off offset:1728
	;; [unrolled: 1-line block ×8, first 2 shown]
	v_addc_co_u32_e32 v72, vcc, 0, v6, vcc
	global_load_dwordx2 v[44:45], v[10:11], off offset:1120
	global_load_dwordx2 v[38:39], v[10:11], off offset:1984
	;; [unrolled: 1-line block ×15, first 2 shown]
                                        ; kill: killed $vgpr10 killed $vgpr11
                                        ; kill: killed $vgpr34 killed $vgpr35
	global_load_dwordx2 v[5:6], v[67:68], off offset:32
	global_load_dwordx2 v[42:43], v[69:70], off offset:1536
	global_load_dwordx2 v[48:49], v[69:70], off offset:672
	global_load_dwordx2 v[34:35], v[69:70], off offset:3264
	global_load_dwordx2 v[10:11], v[71:72], off offset:480
.LBB0_13:
	s_or_b64 exec, exec, s[4:5]
	s_waitcnt vmcnt(5)
	v_add_f32_e32 v7, v64, v58
	v_add_f32_e32 v0, v58, v32
	v_fmac_f32_e32 v32, -0.5, v7
	v_sub_f32_e32 v7, v59, v65
	v_mov_b32_e32 v67, v32
	v_fmac_f32_e32 v67, 0x3f5db3d7, v7
	v_fmac_f32_e32 v32, 0xbf5db3d7, v7
	v_add_f32_e32 v7, v59, v33
	v_add_f32_e32 v71, v65, v7
	v_add_f32_e32 v7, v65, v59
	v_fmac_f32_e32 v33, -0.5, v7
	v_sub_f32_e32 v7, v58, v64
	v_mov_b32_e32 v72, v33
	v_add_f32_e32 v58, v62, v54
	v_fmac_f32_e32 v72, 0xbf5db3d7, v7
	v_fmac_f32_e32 v33, 0x3f5db3d7, v7
	v_add_f32_e32 v7, v54, v30
	v_fmac_f32_e32 v30, -0.5, v58
	v_sub_f32_e32 v58, v55, v63
	v_mov_b32_e32 v59, v30
	v_fmac_f32_e32 v59, 0x3f5db3d7, v58
	v_fmac_f32_e32 v30, 0xbf5db3d7, v58
	v_add_f32_e32 v58, v55, v31
	v_add_f32_e32 v55, v63, v55
	v_fmac_f32_e32 v31, -0.5, v55
	v_sub_f32_e32 v54, v54, v62
	v_mov_b32_e32 v78, v31
	v_fmac_f32_e32 v78, 0xbf5db3d7, v54
	v_fmac_f32_e32 v31, 0x3f5db3d7, v54
	v_add_f32_e32 v54, v50, v28
	v_add_f32_e32 v55, v60, v54
	;; [unrolled: 1-line block ×3, first 2 shown]
	v_fmac_f32_e32 v28, -0.5, v54
	v_add_f32_e32 v76, v63, v58
	v_sub_f32_e32 v54, v51, v61
	v_mov_b32_e32 v58, v28
	v_fmac_f32_e32 v58, 0x3f5db3d7, v54
	v_fmac_f32_e32 v28, 0xbf5db3d7, v54
	v_add_f32_e32 v54, v51, v29
	v_add_f32_e32 v51, v61, v51
	v_fmac_f32_e32 v29, -0.5, v51
	v_sub_f32_e32 v50, v50, v60
	v_mov_b32_e32 v80, v29
	v_add_f32_e32 v51, v56, v46
	v_fmac_f32_e32 v80, 0xbf5db3d7, v50
	v_fmac_f32_e32 v29, 0x3f5db3d7, v50
	v_add_f32_e32 v50, v46, v26
	v_fmac_f32_e32 v26, -0.5, v51
	v_sub_f32_e32 v51, v47, v57
	v_mov_b32_e32 v60, v26
	v_fmac_f32_e32 v60, 0x3f5db3d7, v51
	v_fmac_f32_e32 v26, 0xbf5db3d7, v51
	v_add_f32_e32 v51, v47, v27
	v_add_f32_e32 v47, v57, v47
	v_fmac_f32_e32 v27, -0.5, v47
	v_sub_f32_e32 v46, v46, v56
	v_mov_b32_e32 v85, v27
	v_add_f32_e32 v47, v52, v40
	v_fmac_f32_e32 v85, 0xbf5db3d7, v46
	v_fmac_f32_e32 v27, 0x3f5db3d7, v46
	v_add_f32_e32 v46, v40, v14
	v_fmac_f32_e32 v14, -0.5, v47
	v_add_f32_e32 v83, v57, v51
	v_sub_f32_e32 v47, v41, v53
	v_mov_b32_e32 v51, v14
	v_fmac_f32_e32 v51, 0x3f5db3d7, v47
	v_fmac_f32_e32 v14, 0xbf5db3d7, v47
	v_add_f32_e32 v47, v41, v15
	v_add_f32_e32 v41, v53, v41
	v_fmac_f32_e32 v15, -0.5, v41
	v_sub_f32_e32 v40, v40, v52
	v_mov_b32_e32 v74, v15
	s_waitcnt vmcnt(2)
	v_add_f32_e32 v41, v44, v48
	v_fmac_f32_e32 v74, 0xbf5db3d7, v40
	v_fmac_f32_e32 v15, 0x3f5db3d7, v40
	v_add_f32_e32 v40, v48, v24
	v_fmac_f32_e32 v24, -0.5, v41
	v_add_f32_e32 v73, v53, v47
	v_sub_f32_e32 v41, v49, v45
	v_mov_b32_e32 v47, v24
	v_fmac_f32_e32 v47, 0x3f5db3d7, v41
	v_fmac_f32_e32 v24, 0xbf5db3d7, v41
	v_add_f32_e32 v41, v49, v25
	v_add_f32_e32 v79, v61, v54
	;; [unrolled: 1-line block ×4, first 2 shown]
	v_fmac_f32_e32 v25, -0.5, v41
	v_add_f32_e32 v0, v64, v0
	v_add_f32_e32 v40, v44, v40
	v_sub_f32_e32 v41, v48, v44
	v_mov_b32_e32 v64, v25
	v_add_f32_e32 v44, v38, v42
	v_fmac_f32_e32 v64, 0xbf5db3d7, v41
	v_fmac_f32_e32 v25, 0x3f5db3d7, v41
	v_add_f32_e32 v41, v42, v22
	v_fmac_f32_e32 v22, -0.5, v44
	v_sub_f32_e32 v44, v43, v39
	v_mov_b32_e32 v45, v22
	v_fmac_f32_e32 v45, 0x3f5db3d7, v44
	v_fmac_f32_e32 v22, 0xbf5db3d7, v44
	v_add_f32_e32 v44, v43, v23
	v_add_f32_e32 v75, v39, v44
	;; [unrolled: 1-line block ×3, first 2 shown]
	v_fmac_f32_e32 v23, -0.5, v39
	v_add_f32_e32 v41, v38, v41
	v_sub_f32_e32 v38, v42, v38
	v_mov_b32_e32 v77, v23
	v_add_f32_e32 v39, v12, v36
	v_fmac_f32_e32 v77, 0xbf5db3d7, v38
	v_fmac_f32_e32 v23, 0x3f5db3d7, v38
	v_add_f32_e32 v38, v36, v20
	v_fmac_f32_e32 v20, -0.5, v39
	v_sub_f32_e32 v39, v37, v13
	v_mov_b32_e32 v42, v20
	v_fmac_f32_e32 v42, 0x3f5db3d7, v39
	v_fmac_f32_e32 v20, 0xbf5db3d7, v39
	v_add_f32_e32 v39, v37, v21
	v_add_f32_e32 v81, v13, v39
	;; [unrolled: 1-line block ×3, first 2 shown]
	v_fmac_f32_e32 v21, -0.5, v13
	v_add_f32_e32 v38, v12, v38
	v_sub_f32_e32 v12, v36, v12
	v_mov_b32_e32 v82, v21
	s_waitcnt vmcnt(1)
	v_add_f32_e32 v13, v8, v34
	v_fmac_f32_e32 v82, 0xbf5db3d7, v12
	v_fmac_f32_e32 v21, 0x3f5db3d7, v12
	v_add_f32_e32 v12, v34, v18
	v_fmac_f32_e32 v18, -0.5, v13
	v_sub_f32_e32 v13, v35, v9
	v_mov_b32_e32 v36, v18
	v_fmac_f32_e32 v36, 0x3f5db3d7, v13
	v_fmac_f32_e32 v18, 0xbf5db3d7, v13
	v_add_f32_e32 v13, v35, v19
	v_mad_u32_u24 v89, v66, 12, 0
	s_load_dwordx2 s[2:3], s[2:3], 0x0
	v_add_f32_e32 v7, v62, v7
	v_add_f32_e32 v84, v9, v13
	;; [unrolled: 1-line block ×3, first 2 shown]
	ds_write2_b32 v89, v0, v67 offset1:1
	ds_write_b32 v89, v32 offset:8
	v_add_u32_e32 v32, 0x510, v89
	v_fmac_f32_e32 v19, -0.5, v9
	ds_write2_b32 v32, v7, v59 offset1:1
	ds_write_b32 v89, v30 offset:1304
	v_add_u32_e32 v30, 0xa20, v89
	v_add_f32_e32 v50, v56, v50
	v_add_f32_e32 v12, v8, v12
	v_sub_f32_e32 v8, v34, v8
	v_mov_b32_e32 v86, v19
	s_waitcnt vmcnt(0)
	v_add_f32_e32 v9, v10, v5
	ds_write2_b32 v30, v55, v58 offset1:1
	ds_write_b32 v89, v28 offset:2600
	v_add_u32_e32 v28, 0xf30, v89
	v_add_f32_e32 v46, v52, v46
	v_fmac_f32_e32 v86, 0xbf5db3d7, v8
	v_fmac_f32_e32 v19, 0x3f5db3d7, v8
	v_add_f32_e32 v8, v5, v16
	v_fmac_f32_e32 v16, -0.5, v9
	ds_write2_b32 v28, v50, v60 offset1:1
	ds_write_b32 v89, v26 offset:3896
	v_add_u32_e32 v26, 0x1440, v89
	v_add_u32_e32 v90, 0x1954, v89
	v_sub_f32_e32 v9, v6, v11
	v_mov_b32_e32 v13, v16
	ds_write2_b32 v26, v46, v51 offset1:1
	ds_write_b32 v89, v14 offset:5192
	ds_write_b32 v89, v40 offset:6480
	ds_write2_b32 v90, v47, v24 offset1:1
	ds_write_b32 v89, v41 offset:7776
	v_add_u32_e32 v24, 0x1e64, v89
	v_fmac_f32_e32 v13, 0x3f5db3d7, v9
	v_fmac_f32_e32 v16, 0xbf5db3d7, v9
	v_add_f32_e32 v9, v6, v17
	v_add_f32_e32 v6, v11, v6
	ds_write2_b32 v24, v45, v22 offset1:1
	ds_write_b32 v89, v38 offset:9072
	v_add_u32_e32 v22, 0x2374, v89
	v_fmac_f32_e32 v17, -0.5, v6
	ds_write2_b32 v22, v42, v20 offset1:1
	ds_write_b32 v89, v12 offset:10368
	v_add_u32_e32 v20, 0x2884, v89
	v_lshl_add_u32 v0, v66, 2, 0
	v_add_f32_e32 v8, v10, v8
	v_sub_f32_e32 v5, v5, v10
	v_mov_b32_e32 v88, v17
	ds_write2_b32 v20, v36, v18 offset1:1
	ds_write_b32 v89, v8 offset:11664
	v_add_u32_e32 v18, 0x2d94, v89
	v_add_u32_e32 v59, 0x1000, v0
	;; [unrolled: 1-line block ×15, first 2 shown]
	s_movk_i32 s4, 0xab
	v_add_f32_e32 v87, v11, v9
	v_fmac_f32_e32 v88, 0xbf5db3d7, v5
	v_fmac_f32_e32 v17, 0x3f5db3d7, v5
	ds_write2_b32 v18, v13, v16 offset1:1
	s_waitcnt lgkmcnt(0)
	s_barrier
	ds_read2_b32 v[13:14], v0 offset1:108
	ds_read2_b32 v[50:51], v59 offset0:56 offset1:164
	ds_read2_b32 v[52:53], v58 offset0:112 offset1:220
	;; [unrolled: 1-line block ×14, first 2 shown]
	s_waitcnt lgkmcnt(0)
	s_barrier
	ds_write2_b32 v89, v71, v72 offset1:1
	ds_write_b32 v89, v33 offset:8
	ds_write2_b32 v32, v76, v78 offset1:1
	ds_write_b32 v89, v31 offset:1304
	;; [unrolled: 2-line block ×5, first 2 shown]
	ds_write_b32 v89, v54 offset:6480
	ds_write2_b32 v90, v64, v25 offset1:1
	ds_write_b32 v89, v75 offset:7776
	ds_write2_b32 v24, v77, v23 offset1:1
	;; [unrolled: 2-line block ×5, first 2 shown]
	v_mul_lo_u16_sdwa v15, v66, s4 dst_sel:DWORD dst_unused:UNUSED_PAD src0_sel:BYTE_0 src1_sel:DWORD
	v_lshrrev_b16_e32 v27, 9, v15
	v_mul_lo_u16_e32 v15, 3, v27
	v_sub_u16_e32 v28, v66, v15
	v_mov_b32_e32 v15, 4
	v_lshlrev_b32_sdwa v16, v15, v28 dst_sel:DWORD dst_unused:UNUSED_PAD src0_sel:DWORD src1_sel:BYTE_0
	s_waitcnt lgkmcnt(0)
	s_barrier
	global_load_dwordx4 v[19:22], v16, s[12:13]
	v_add_u16_e32 v72, 0x6c, v66
	v_mul_lo_u16_sdwa v16, v72, s4 dst_sel:DWORD dst_unused:UNUSED_PAD src0_sel:BYTE_0 src1_sel:DWORD
	v_lshrrev_b16_e32 v25, 9, v16
	v_mul_lo_u16_e32 v16, 3, v25
	s_mov_b32 s4, 0xaaab
	v_add_u32_e32 v64, 0x1b0, v66
	v_sub_u16_e32 v26, v72, v16
	v_mul_u32_u24_sdwa v16, v64, s4 dst_sel:DWORD dst_unused:UNUSED_PAD src0_sel:WORD_0 src1_sel:DWORD
	v_lshrrev_b32_e32 v33, 17, v16
	v_mul_lo_u16_e32 v16, 3, v33
	v_sub_u16_e32 v73, v64, v16
	v_lshlrev_b32_sdwa v15, v15, v26 dst_sel:DWORD dst_unused:UNUSED_PAD src0_sel:DWORD src1_sel:BYTE_0
	v_add_u32_e32 v71, 0xd8, v66
	v_lshlrev_b32_e32 v16, 4, v73
	global_load_dwordx4 v[83:86], v15, s[12:13]
	global_load_dwordx4 v[95:98], v16, s[12:13]
	v_mul_u32_u24_sdwa v15, v71, s4 dst_sel:DWORD dst_unused:UNUSED_PAD src0_sel:WORD_0 src1_sel:DWORD
	v_lshrrev_b32_e32 v29, 17, v15
	v_mul_lo_u16_e32 v15, 3, v29
	v_sub_u16_e32 v30, v71, v15
	v_lshlrev_b32_e32 v15, 4, v30
	v_add_u32_e32 v54, 0x144, v66
	global_load_dwordx4 v[87:90], v15, s[12:13]
	v_mul_u32_u24_sdwa v15, v54, s4 dst_sel:DWORD dst_unused:UNUSED_PAD src0_sel:WORD_0 src1_sel:DWORD
	v_lshrrev_b32_e32 v31, 17, v15
	v_mul_lo_u16_e32 v15, 3, v31
	v_sub_u16_e32 v32, v54, v15
	v_lshlrev_b32_e32 v15, 4, v32
	global_load_dwordx4 v[91:94], v15, s[12:13]
	v_add_u32_e32 v15, 0x21c, v66
	v_mul_u32_u24_sdwa v17, v15, s4 dst_sel:DWORD dst_unused:UNUSED_PAD src0_sel:WORD_0 src1_sel:DWORD
	v_lshrrev_b32_e32 v74, 17, v17
	v_mul_lo_u16_e32 v17, 3, v74
	v_sub_u16_e32 v75, v15, v17
	v_lshlrev_b32_e32 v15, 4, v75
	global_load_dwordx4 v[99:102], v15, s[12:13]
	ds_read2_b32 v[17:18], v0 offset1:108
	ds_read2_b32 v[23:24], v59 offset0:56 offset1:164
	v_add_u32_e32 v16, 0x288, v66
	v_add_u32_e32 v79, 0x2f4, v66
	;; [unrolled: 1-line block ×3, first 2 shown]
	v_mul_u32_u24_sdwa v15, v16, s4 dst_sel:DWORD dst_unused:UNUSED_PAD src0_sel:WORD_0 src1_sel:DWORD
	v_mul_u32_u24_sdwa v78, v79, s4 dst_sel:DWORD dst_unused:UNUSED_PAD src0_sel:WORD_0 src1_sel:DWORD
	v_lshrrev_b32_e32 v76, 17, v15
	v_lshrrev_b32_e32 v78, 17, v78
	v_mul_lo_u16_e32 v15, 3, v76
	v_mul_lo_u16_e32 v80, 3, v78
	v_sub_u16_e32 v77, v16, v15
	v_sub_u16_e32 v79, v79, v80
	v_add_u32_e32 v81, 0x360, v66
	v_lshlrev_b32_e32 v15, 4, v77
	v_lshlrev_b32_e32 v80, 4, v79
	global_load_dwordx4 v[103:106], v15, s[12:13]
	ds_read2_b32 v[119:120], v58 offset0:112 offset1:220
	ds_read2_b32 v[15:16], v55 offset0:88 offset1:196
	global_load_dwordx4 v[107:110], v80, s[12:13]
	ds_read2_b32 v[121:122], v56 offset0:16 offset1:124
	v_mul_u32_u24_e32 v27, 36, v27
	v_mul_u32_u24_e32 v25, 36, v25
	s_mov_b32 s6, 0x3f737871
	s_mov_b32 s5, 0xbf737871
	;; [unrolled: 1-line block ×3, first 2 shown]
	s_waitcnt vmcnt(7) lgkmcnt(3)
	v_mul_f32_e32 v115, v23, v20
	v_mul_f32_e32 v124, v50, v20
	v_mul_u32_u24_sdwa v20, v82, s4 dst_sel:DWORD dst_unused:UNUSED_PAD src0_sel:WORD_0 src1_sel:DWORD
	v_fma_f32 v123, v50, v19, -v115
	v_lshrrev_b32_e32 v50, 17, v20
	v_mul_lo_u16_e32 v20, 3, v50
	v_sub_u16_e32 v82, v82, v20
	v_lshlrev_b32_e32 v20, 4, v82
	global_load_dwordx4 v[115:118], v20, s[12:13]
	v_mul_u32_u24_sdwa v80, v81, s4 dst_sel:DWORD dst_unused:UNUSED_PAD src0_sel:WORD_0 src1_sel:DWORD
	v_lshrrev_b32_e32 v80, 17, v80
	v_mul_lo_u16_e32 v111, 3, v80
	v_sub_u16_e32 v81, v81, v111
	v_lshlrev_b32_e32 v111, 4, v81
	global_load_dwordx4 v[111:114], v111, s[12:13]
	v_fmac_f32_e32 v124, v23, v19
	s_waitcnt lgkmcnt(2)
	v_mul_f32_e32 v19, v119, v22
	v_mul_f32_e32 v126, v52, v22
	ds_read2_b32 v[22:23], v57 offset0:72 offset1:180
	v_fma_f32 v125, v52, v21, -v19
	s_waitcnt vmcnt(8)
	v_mul_f32_e32 v19, v24, v84
	v_fmac_f32_e32 v126, v119, v21
	v_fma_f32 v119, v51, v83, -v19
	v_mul_f32_e32 v127, v51, v84
	v_mul_f32_e32 v21, v120, v86
	ds_read2_b32 v[51:52], v67 offset0:104 offset1:212
	v_fmac_f32_e32 v127, v24, v83
	v_fma_f32 v128, v53, v85, -v21
	v_mul_f32_e32 v53, v53, v86
	ds_read2_b32 v[83:84], v68 offset0:32 offset1:140
	s_waitcnt vmcnt(6) lgkmcnt(3)
	v_mul_f32_e32 v21, v121, v88
	v_fmac_f32_e32 v53, v120, v85
	v_fma_f32 v120, v46, v87, -v21
	v_mul_f32_e32 v129, v46, v88
	s_waitcnt lgkmcnt(2)
	v_mul_f32_e32 v21, v22, v90
	v_mul_f32_e32 v130, v44, v90
	s_waitcnt vmcnt(5)
	v_mul_f32_e32 v24, v122, v92
	v_fmac_f32_e32 v129, v121, v87
	v_fma_f32 v121, v44, v89, -v21
	v_fmac_f32_e32 v130, v22, v89
	v_fma_f32 v89, v47, v91, -v24
	v_mul_f32_e32 v131, v47, v92
	ds_read2_b32 v[46:47], v61 offset0:64 offset1:172
	v_mul_f32_e32 v24, v23, v94
	v_fmac_f32_e32 v131, v122, v91
	v_fma_f32 v122, v45, v93, -v24
	v_mul_f32_e32 v132, v45, v94
	ds_read2_b32 v[44:45], v62 offset0:120 offset1:228
	s_waitcnt lgkmcnt(3)
	v_mul_f32_e32 v85, v51, v96
	v_fma_f32 v133, v42, v95, -v85
	v_mul_f32_e32 v134, v42, v96
	s_waitcnt lgkmcnt(2)
	v_mul_f32_e32 v42, v83, v98
	s_waitcnt vmcnt(4)
	v_mul_f32_e32 v135, v43, v100
	v_fmac_f32_e32 v134, v51, v95
	v_fma_f32 v51, v40, v97, -v42
	v_mul_f32_e32 v40, v40, v98
	ds_read2_b32 v[85:86], v70 offset0:24 offset1:132
	v_mul_f32_e32 v42, v52, v100
	v_fmac_f32_e32 v135, v52, v99
	v_mul_f32_e32 v52, v84, v102
	v_fmac_f32_e32 v40, v83, v97
	v_fma_f32 v83, v43, v99, -v42
	ds_read2_b32 v[42:43], v63 offset0:80 offset1:188
	v_fma_f32 v52, v41, v101, -v52
	v_mul_f32_e32 v136, v41, v102
	s_waitcnt vmcnt(3) lgkmcnt(3)
	v_mul_f32_e32 v41, v46, v104
	v_fmac_f32_e32 v136, v84, v101
	v_fma_f32 v84, v36, v103, -v41
	s_waitcnt lgkmcnt(2)
	v_mul_f32_e32 v41, v44, v106
	v_fma_f32 v137, v38, v105, -v41
	v_mul_f32_e32 v106, v38, v106
	s_waitcnt vmcnt(2)
	v_mul_f32_e32 v38, v47, v108
	v_fmac_f32_e32 v106, v44, v105
	v_fma_f32 v105, v37, v107, -v38
	v_mul_f32_e32 v108, v37, v108
	v_mul_f32_e32 v37, v45, v110
	v_fmac_f32_e32 v108, v47, v107
	v_fma_f32 v107, v39, v109, -v37
	v_mul_f32_e32 v110, v39, v110
	v_fmac_f32_e32 v110, v45, v109
	v_mul_f32_e32 v36, v36, v104
	v_fmac_f32_e32 v36, v46, v103
	v_fmac_f32_e32 v132, v23, v93
	ds_read2_b32 v[19:20], v65 offset0:48 offset1:156
	ds_read2_b32 v[21:22], v60 offset0:136 offset1:244
	;; [unrolled: 1-line block ×3, first 2 shown]
	s_waitcnt vmcnt(0) lgkmcnt(0)
	s_barrier
	s_mov_b32 s4, 0xe38f
	v_mul_f32_e32 v37, v85, v112
	v_fma_f32 v45, v34, v111, -v37
	v_mul_f32_e32 v109, v34, v112
	v_mul_f32_e32 v34, v42, v114
	v_fmac_f32_e32 v109, v85, v111
	v_fma_f32 v111, v48, v113, -v34
	v_mul_f32_e32 v112, v48, v114
	v_mul_f32_e32 v34, v86, v116
	v_fmac_f32_e32 v112, v42, v113
	;; [unrolled: 4-line block ×3, first 2 shown]
	v_fma_f32 v115, v49, v117, -v34
	v_add_f32_e32 v34, v13, v123
	v_add_f32_e32 v103, v34, v125
	;; [unrolled: 1-line block ×3, first 2 shown]
	v_fma_f32 v99, -0.5, v34, v13
	v_sub_f32_e32 v13, v124, v126
	v_mov_b32_e32 v104, v99
	v_fmac_f32_e32 v104, 0x3f5db3d7, v13
	v_fmac_f32_e32 v99, 0xbf5db3d7, v13
	v_add_f32_e32 v13, v17, v124
	v_add_f32_e32 v91, v13, v126
	;; [unrolled: 1-line block ×3, first 2 shown]
	v_fma_f32 v90, -0.5, v13, v17
	v_sub_f32_e32 v13, v123, v125
	v_mov_b32_e32 v94, v90
	v_fmac_f32_e32 v94, 0xbf5db3d7, v13
	v_fmac_f32_e32 v90, 0x3f5db3d7, v13
	v_add_f32_e32 v13, v14, v119
	v_add_f32_e32 v101, v13, v128
	v_add_f32_e32 v13, v119, v128
	v_fmac_f32_e32 v14, -0.5, v13
	v_sub_f32_e32 v13, v127, v53
	v_mov_b32_e32 v102, v14
	v_fmac_f32_e32 v102, 0x3f5db3d7, v13
	v_fmac_f32_e32 v14, 0xbf5db3d7, v13
	v_add_f32_e32 v13, v18, v127
	v_add_f32_e32 v88, v13, v53
	;; [unrolled: 1-line block ×3, first 2 shown]
	v_fmac_f32_e32 v18, -0.5, v13
	v_sub_f32_e32 v13, v119, v128
	v_mov_b32_e32 v93, v18
	v_fmac_f32_e32 v93, 0xbf5db3d7, v13
	v_fmac_f32_e32 v18, 0x3f5db3d7, v13
	v_add_f32_e32 v13, v11, v120
	v_add_f32_e32 v98, v13, v121
	;; [unrolled: 1-line block ×3, first 2 shown]
	v_fma_f32 v44, -0.5, v13, v11
	v_sub_f32_e32 v11, v129, v130
	v_mov_b32_e32 v100, v44
	v_fmac_f32_e32 v100, 0x3f5db3d7, v11
	v_fmac_f32_e32 v44, 0xbf5db3d7, v11
	v_add_f32_e32 v11, v15, v129
	v_add_f32_e32 v87, v11, v130
	;; [unrolled: 1-line block ×3, first 2 shown]
	v_fma_f32 v86, -0.5, v11, v15
	v_sub_f32_e32 v11, v120, v121
	v_mov_b32_e32 v92, v86
	v_fmac_f32_e32 v92, 0xbf5db3d7, v11
	v_fmac_f32_e32 v86, 0x3f5db3d7, v11
	v_add_f32_e32 v11, v12, v89
	v_add_f32_e32 v96, v11, v122
	;; [unrolled: 1-line block ×3, first 2 shown]
	v_fmac_f32_e32 v12, -0.5, v11
	v_sub_f32_e32 v11, v131, v132
	v_mov_b32_e32 v97, v12
	v_fmac_f32_e32 v97, 0x3f5db3d7, v11
	v_fmac_f32_e32 v12, 0xbf5db3d7, v11
	v_add_f32_e32 v11, v16, v131
	v_add_f32_e32 v85, v11, v132
	;; [unrolled: 1-line block ×3, first 2 shown]
	v_fmac_f32_e32 v16, -0.5, v11
	v_sub_f32_e32 v11, v89, v122
	v_mov_b32_e32 v89, v16
	v_mul_f32_e32 v116, v49, v118
	v_fmac_f32_e32 v89, 0xbf5db3d7, v11
	v_fmac_f32_e32 v16, 0x3f5db3d7, v11
	v_add_f32_e32 v11, v9, v133
	v_fmac_f32_e32 v116, v43, v117
	v_add_f32_e32 v43, v11, v51
	v_add_f32_e32 v11, v133, v51
	v_fma_f32 v39, -0.5, v11, v9
	v_sub_f32_e32 v9, v134, v40
	v_mov_b32_e32 v95, v39
	v_fmac_f32_e32 v95, 0x3f5db3d7, v9
	v_fmac_f32_e32 v39, 0xbf5db3d7, v9
	v_add_f32_e32 v9, v19, v134
	v_add_f32_e32 v46, v9, v40
	;; [unrolled: 1-line block ×3, first 2 shown]
	v_fma_f32 v19, -0.5, v9, v19
	v_sub_f32_e32 v9, v133, v51
	v_mov_b32_e32 v47, v19
	v_fmac_f32_e32 v47, 0xbf5db3d7, v9
	v_fmac_f32_e32 v19, 0x3f5db3d7, v9
	v_add_f32_e32 v9, v10, v83
	v_add_f32_e32 v41, v9, v52
	;; [unrolled: 1-line block ×3, first 2 shown]
	v_fmac_f32_e32 v10, -0.5, v9
	v_sub_f32_e32 v9, v135, v136
	v_mov_b32_e32 v42, v10
	v_fmac_f32_e32 v42, 0x3f5db3d7, v9
	v_fmac_f32_e32 v10, 0xbf5db3d7, v9
	v_add_f32_e32 v9, v20, v135
	v_add_f32_e32 v49, v9, v136
	;; [unrolled: 1-line block ×3, first 2 shown]
	v_fmac_f32_e32 v20, -0.5, v9
	v_sub_f32_e32 v9, v83, v52
	v_mov_b32_e32 v51, v20
	v_fmac_f32_e32 v51, 0xbf5db3d7, v9
	v_fmac_f32_e32 v20, 0x3f5db3d7, v9
	v_add_f32_e32 v9, v7, v84
	v_add_f32_e32 v38, v9, v137
	;; [unrolled: 1-line block ×3, first 2 shown]
	v_fma_f32 v34, -0.5, v9, v7
	v_add_f32_e32 v9, v36, v106
	v_fma_f32 v15, -0.5, v9, v21
	v_sub_f32_e32 v9, v84, v137
	v_mov_b32_e32 v17, v15
	v_sub_f32_e32 v7, v36, v106
	v_mov_b32_e32 v40, v34
	v_fmac_f32_e32 v17, 0xbf5db3d7, v9
	v_fmac_f32_e32 v15, 0x3f5db3d7, v9
	v_add_f32_e32 v9, v8, v105
	v_fmac_f32_e32 v40, 0x3f5db3d7, v7
	v_fmac_f32_e32 v34, 0xbf5db3d7, v7
	v_add_f32_e32 v7, v21, v36
	v_add_f32_e32 v36, v9, v107
	;; [unrolled: 1-line block ×3, first 2 shown]
	v_fmac_f32_e32 v8, -0.5, v9
	v_sub_f32_e32 v9, v108, v110
	v_mov_b32_e32 v37, v8
	v_fmac_f32_e32 v37, 0x3f5db3d7, v9
	v_fmac_f32_e32 v8, 0xbf5db3d7, v9
	v_add_f32_e32 v9, v22, v108
	v_add_f32_e32 v21, v9, v110
	;; [unrolled: 1-line block ×3, first 2 shown]
	v_fmac_f32_e32 v22, -0.5, v9
	v_sub_f32_e32 v9, v105, v107
	v_mov_b32_e32 v48, v22
	v_fmac_f32_e32 v48, 0xbf5db3d7, v9
	v_fmac_f32_e32 v22, 0x3f5db3d7, v9
	v_add_f32_e32 v9, v5, v45
	v_add_f32_e32 v13, v9, v111
	;; [unrolled: 1-line block ×3, first 2 shown]
	v_fma_f32 v5, -0.5, v9, v5
	v_sub_f32_e32 v9, v109, v112
	v_mov_b32_e32 v35, v5
	v_fmac_f32_e32 v35, 0x3f5db3d7, v9
	v_fmac_f32_e32 v5, 0xbf5db3d7, v9
	v_add_f32_e32 v9, v23, v109
	v_add_f32_e32 v52, v9, v112
	;; [unrolled: 1-line block ×3, first 2 shown]
	v_fma_f32 v23, -0.5, v9, v23
	v_sub_f32_e32 v9, v45, v111
	v_mov_b32_e32 v53, v23
	v_add_f32_e32 v11, v113, v115
	v_fmac_f32_e32 v53, 0xbf5db3d7, v9
	v_fmac_f32_e32 v23, 0x3f5db3d7, v9
	v_add_f32_e32 v9, v6, v113
	v_fmac_f32_e32 v6, -0.5, v11
	v_sub_f32_e32 v45, v114, v116
	v_mov_b32_e32 v11, v6
	v_fmac_f32_e32 v11, 0x3f5db3d7, v45
	v_fmac_f32_e32 v6, 0xbf5db3d7, v45
	v_add_f32_e32 v45, v24, v114
	v_add_f32_e32 v83, v45, v116
	;; [unrolled: 1-line block ×3, first 2 shown]
	v_fmac_f32_e32 v24, -0.5, v45
	v_sub_f32_e32 v45, v113, v115
	v_mov_b32_e32 v84, v24
	v_fmac_f32_e32 v84, 0xbf5db3d7, v45
	v_fmac_f32_e32 v24, 0x3f5db3d7, v45
	v_mov_b32_e32 v45, 2
	v_lshlrev_b32_sdwa v28, v45, v28 dst_sel:DWORD dst_unused:UNUSED_PAD src0_sel:DWORD src1_sel:BYTE_0
	v_add3_u32 v105, 0, v27, v28
	v_lshlrev_b32_sdwa v26, v45, v26 dst_sel:DWORD dst_unused:UNUSED_PAD src0_sel:DWORD src1_sel:BYTE_0
	ds_write2_b32 v105, v103, v104 offset1:3
	ds_write_b32 v105, v99 offset:24
	v_add3_u32 v99, 0, v25, v26
	ds_write2_b32 v99, v101, v102 offset1:3
	ds_write_b32 v99, v14 offset:24
	v_mul_u32_u24_e32 v14, 36, v29
	v_lshlrev_b32_e32 v25, 2, v30
	v_add3_u32 v101, 0, v14, v25
	v_mul_u32_u24_e32 v14, 36, v31
	v_lshlrev_b32_e32 v25, 2, v32
	ds_write2_b32 v101, v98, v100 offset1:3
	ds_write_b32 v101, v44 offset:24
	v_add3_u32 v98, 0, v14, v25
	ds_write2_b32 v98, v96, v97 offset1:3
	ds_write_b32 v98, v12 offset:24
	v_mul_u32_u24_e32 v12, 36, v33
	v_lshlrev_b32_e32 v14, 2, v73
	v_add3_u32 v73, 0, v12, v14
	v_mul_u32_u24_e32 v12, 36, v74
	v_lshlrev_b32_e32 v14, 2, v75
	v_add3_u32 v74, 0, v12, v14
	ds_write2_b32 v73, v43, v95 offset1:3
	ds_write_b32 v73, v39 offset:24
	ds_write2_b32 v74, v41, v42 offset1:3
	ds_write_b32 v74, v10 offset:24
	v_mul_u32_u24_e32 v10, 36, v76
	v_lshlrev_b32_e32 v12, 2, v77
	v_add3_u32 v75, 0, v10, v12
	v_mul_u32_u24_e32 v10, 36, v78
	v_lshlrev_b32_e32 v12, 2, v79
	v_add3_u32 v76, 0, v10, v12
	ds_write2_b32 v75, v38, v40 offset1:3
	ds_write_b32 v75, v34 offset:24
	ds_write2_b32 v76, v36, v37 offset1:3
	ds_write_b32 v76, v8 offset:24
	v_mul_u32_u24_e32 v8, 36, v80
	v_lshlrev_b32_e32 v10, 2, v81
	v_add3_u32 v8, 0, v8, v10
	ds_write2_b32 v8, v13, v35 offset1:3
	ds_write_b32 v8, v5 offset:24
	v_mul_u32_u24_e32 v5, 36, v50
	v_lshlrev_b32_e32 v10, 2, v82
	v_add_f32_e32 v7, v7, v106
	v_add_f32_e32 v9, v9, v115
	v_add3_u32 v50, 0, v5, v10
	ds_write2_b32 v50, v9, v11 offset1:3
	ds_write_b32 v50, v6 offset:24
	s_waitcnt lgkmcnt(0)
	s_barrier
	ds_read2_b32 v[9:10], v0 offset1:108
	ds_read2_b32 v[5:6], v55 offset0:88 offset1:196
	ds_read2_b32 v[95:96], v60 offset0:136 offset1:244
	;; [unrolled: 1-line block ×14, first 2 shown]
	s_waitcnt lgkmcnt(0)
	s_barrier
	ds_write2_b32 v105, v91, v94 offset1:3
	ds_write_b32 v105, v90 offset:24
	ds_write2_b32 v99, v88, v93 offset1:3
	ds_write_b32 v99, v18 offset:24
	;; [unrolled: 2-line block ×10, first 2 shown]
	v_mov_b32_e32 v7, 57
	v_mul_lo_u16_sdwa v8, v66, v7 dst_sel:DWORD dst_unused:UNUSED_PAD src0_sel:BYTE_0 src1_sel:DWORD
	v_lshrrev_b16_e32 v17, 9, v8
	v_mul_lo_u16_e32 v8, 9, v17
	v_sub_u16_e32 v18, v66, v8
	v_mov_b32_e32 v8, 9
	v_mul_u32_u24_sdwa v15, v18, v8 dst_sel:DWORD dst_unused:UNUSED_PAD src0_sel:BYTE_0 src1_sel:DWORD
	v_lshlrev_b32_e32 v19, 3, v15
	s_waitcnt lgkmcnt(0)
	s_barrier
	global_load_dwordx4 v[21:24], v19, s[12:13] offset:48
	global_load_dwordx4 v[46:49], v19, s[12:13] offset:64
	;; [unrolled: 1-line block ×4, first 2 shown]
	v_mul_lo_u16_sdwa v7, v72, v7 dst_sel:DWORD dst_unused:UNUSED_PAD src0_sel:BYTE_0 src1_sel:DWORD
	v_lshrrev_b16_e32 v15, 9, v7
	v_mul_lo_u16_e32 v7, 9, v15
	v_sub_u16_e32 v16, v72, v7
	v_mul_u32_u24_sdwa v7, v16, v8 dst_sel:DWORD dst_unused:UNUSED_PAD src0_sel:BYTE_0 src1_sel:DWORD
	v_lshlrev_b32_e32 v20, 3, v7
	global_load_dwordx4 v[77:80], v20, s[12:13] offset:48
	global_load_dwordx4 v[81:84], v20, s[12:13] offset:64
	;; [unrolled: 1-line block ×4, first 2 shown]
	global_load_dwordx2 v[97:98], v19, s[12:13] offset:112
	ds_read2_b32 v[7:8], v55 offset0:88 offset1:196
	ds_read2_b32 v[93:94], v60 offset0:136 offset1:244
	;; [unrolled: 1-line block ×12, first 2 shown]
	global_load_dwordx2 v[119:120], v20, s[12:13] offset:112
	s_waitcnt vmcnt(9) lgkmcnt(11)
	v_mul_f32_e32 v19, v8, v22
	v_fma_f32 v19, v6, v21, -v19
	v_mul_f32_e32 v20, v6, v22
	s_waitcnt lgkmcnt(10)
	v_mul_f32_e32 v6, v93, v24
	v_fma_f32 v121, v95, v23, -v6
	s_waitcnt vmcnt(8) lgkmcnt(9)
	v_mul_f32_e32 v6, v100, v47
	v_fma_f32 v123, v34, v46, -v6
	v_mul_f32_e32 v34, v34, v47
	s_waitcnt lgkmcnt(8)
	v_mul_f32_e32 v6, v101, v49
	v_fmac_f32_e32 v34, v100, v46
	v_fma_f32 v100, v43, v48, -v6
	v_mul_f32_e32 v43, v43, v49
	s_waitcnt vmcnt(7) lgkmcnt(7)
	v_mul_f32_e32 v6, v104, v51
	v_fmac_f32_e32 v43, v101, v48
	v_fma_f32 v101, v30, v50, -v6
	v_mul_f32_e32 v124, v30, v51
	s_waitcnt lgkmcnt(6)
	v_mul_f32_e32 v6, v105, v53
	v_fmac_f32_e32 v124, v104, v50
	v_fma_f32 v104, v41, v52, -v6
	v_mul_f32_e32 v125, v41, v53
	s_waitcnt vmcnt(6) lgkmcnt(5)
	v_mul_f32_e32 v6, v108, v74
	v_fmac_f32_e32 v125, v105, v52
	v_fma_f32 v105, v26, v73, -v6
	v_mul_f32_e32 v126, v26, v74
	s_waitcnt lgkmcnt(4)
	v_mul_f32_e32 v6, v109, v76
	v_fmac_f32_e32 v126, v108, v73
	v_fma_f32 v108, v39, v75, -v6
	s_waitcnt vmcnt(5) lgkmcnt(3)
	v_mul_f32_e32 v6, v111, v78
	v_mul_f32_e32 v122, v95, v24
	v_fma_f32 v24, v37, v77, -v6
	v_mul_f32_e32 v6, v94, v80
	v_fma_f32 v46, v96, v79, -v6
	s_waitcnt vmcnt(4) lgkmcnt(2)
	v_mul_f32_e32 v6, v113, v82
	v_fmac_f32_e32 v122, v93, v23
	v_fma_f32 v23, v35, v81, -v6
	v_mul_f32_e32 v6, v102, v84
	v_fma_f32 v47, v44, v83, -v6
	v_mul_u32_u24_sdwa v6, v71, s4 dst_sel:DWORD dst_unused:UNUSED_PAD src0_sel:WORD_0 src1_sel:DWORD
	v_lshrrev_b32_e32 v6, 19, v6
	v_fmac_f32_e32 v20, v8, v21
	v_mul_lo_u16_e32 v8, 9, v6
	v_sub_u16_e32 v8, v71, v8
	v_mul_f32_e32 v127, v39, v76
	v_mul_u32_u24_e32 v21, 9, v8
	v_fmac_f32_e32 v127, v109, v75
	v_mul_f32_e32 v26, v37, v78
	v_lshlrev_b32_e32 v37, 3, v21
	v_mul_f32_e32 v109, v44, v84
	s_waitcnt vmcnt(3) lgkmcnt(1)
	v_mul_f32_e32 v21, v115, v86
	v_fmac_f32_e32 v109, v102, v83
	v_fma_f32 v102, v31, v85, -v21
	v_mul_f32_e32 v31, v31, v86
	v_mul_f32_e32 v21, v106, v88
	v_fmac_f32_e32 v26, v111, v77
	v_mul_f32_e32 v30, v96, v80
	global_load_dwordx4 v[48:51], v37, s[12:13] offset:64
	global_load_dwordx4 v[73:76], v37, s[12:13] offset:48
	v_mul_f32_e32 v44, v35, v82
	v_fmac_f32_e32 v31, v115, v85
	v_fma_f32 v85, v42, v87, -v21
	v_mul_f32_e32 v111, v42, v88
	s_waitcnt vmcnt(4)
	v_mul_f32_e32 v21, v110, v92
	v_fmac_f32_e32 v30, v94, v79
	v_fmac_f32_e32 v44, v113, v81
	v_fmac_f32_e32 v111, v106, v87
	v_fma_f32 v106, v40, v91, -v21
	v_mul_f32_e32 v113, v40, v92
	global_load_dwordx4 v[39:42], v37, s[12:13] offset:96
	global_load_dwordx4 v[92:95], v37, s[12:13] offset:80
	ds_read2_b32 v[21:22], v62 offset0:120 offset1:228
	ds_read2_b32 v[52:53], v63 offset0:80 offset1:188
	s_waitcnt lgkmcnt(2)
	v_mul_f32_e32 v35, v117, v90
	v_fmac_f32_e32 v113, v110, v91
	v_fma_f32 v110, v27, v89, -v35
	s_waitcnt vmcnt(5) lgkmcnt(1)
	v_mul_f32_e32 v35, v22, v98
	v_mul_f32_e32 v27, v27, v90
	v_fma_f32 v115, v12, v97, -v35
	v_mul_f32_e32 v98, v12, v98
	s_waitcnt vmcnt(4) lgkmcnt(0)
	v_mul_f32_e32 v12, v52, v120
	v_fmac_f32_e32 v27, v117, v89
	v_fma_f32 v117, v13, v119, -v12
	v_mul_f32_e32 v120, v13, v120
	global_load_dwordx2 v[12:13], v37, s[12:13] offset:112
	v_fmac_f32_e32 v98, v22, v97
	ds_read2_b32 v[96:97], v0 offset1:108
	v_fmac_f32_e32 v120, v52, v119
	s_mov_b32 s4, 0xbf167918
	s_waitcnt vmcnt(0) lgkmcnt(0)
	s_barrier
	v_mul_u32_u24_e32 v6, 0x168, v6
	v_mul_f32_e32 v84, v29, v51
	v_mul_f32_e32 v22, v112, v74
	v_fma_f32 v35, v38, v73, -v22
	v_mul_f32_e32 v22, v99, v76
	v_fma_f32 v87, v33, v75, -v22
	;; [unrolled: 2-line block ×4, first 2 shown]
	v_mul_f32_e32 v37, v38, v74
	v_mul_f32_e32 v83, v33, v76
	;; [unrolled: 1-line block ×4, first 2 shown]
	v_fma_f32 v80, v32, v92, -v22
	v_mul_f32_e32 v22, v107, v95
	v_fma_f32 v90, v25, v94, -v22
	v_mul_f32_e32 v22, v118, v40
	;; [unrolled: 2-line block ×4, first 2 shown]
	v_fmac_f32_e32 v89, v21, v41
	v_sub_f32_e32 v21, v43, v125
	v_sub_f32_e32 v22, v121, v100
	;; [unrolled: 1-line block ×3, first 2 shown]
	v_add_f32_e32 v22, v22, v25
	v_mul_f32_e32 v11, v53, v13
	v_fma_f32 v82, v14, v12, -v11
	v_add_f32_e32 v11, v9, v121
	v_add_f32_e32 v11, v11, v100
	v_mul_f32_e32 v78, v14, v13
	v_add_f32_e32 v11, v11, v104
	v_fmac_f32_e32 v78, v53, v12
	v_add_f32_e32 v12, v11, v108
	v_add_f32_e32 v11, v100, v104
	v_fma_f32 v13, -0.5, v11, v9
	v_sub_f32_e32 v11, v122, v127
	v_mov_b32_e32 v14, v13
	v_fmac_f32_e32 v14, 0x3f737871, v11
	v_fmac_f32_e32 v13, 0xbf737871, v11
	v_fmac_f32_e32 v14, 0x3f167918, v21
	v_fmac_f32_e32 v13, 0xbf167918, v21
	v_fmac_f32_e32 v14, 0x3e9e377a, v22
	v_fmac_f32_e32 v13, 0x3e9e377a, v22
	v_add_f32_e32 v22, v121, v108
	v_fma_f32 v25, -0.5, v22, v9
	v_mul_f32_e32 v77, v28, v40
	v_mov_b32_e32 v28, v25
	v_fmac_f32_e32 v28, 0xbf737871, v21
	v_sub_f32_e32 v9, v100, v121
	v_sub_f32_e32 v22, v104, v108
	v_fmac_f32_e32 v25, 0x3f737871, v21
	v_fmac_f32_e32 v28, 0x3f167918, v11
	v_add_f32_e32 v9, v9, v22
	v_fmac_f32_e32 v25, 0xbf167918, v11
	v_fmac_f32_e32 v28, 0x3e9e377a, v9
	;; [unrolled: 1-line block ×3, first 2 shown]
	v_add_f32_e32 v9, v96, v122
	v_add_f32_e32 v9, v9, v43
	;; [unrolled: 1-line block ×5, first 2 shown]
	v_mul_f32_e32 v38, v32, v93
	v_fma_f32 v32, -0.5, v9, v96
	v_fmac_f32_e32 v77, v118, v39
	v_sub_f32_e32 v9, v121, v108
	v_mov_b32_e32 v39, v32
	v_fmac_f32_e32 v39, 0xbf737871, v9
	v_sub_f32_e32 v11, v100, v104
	v_sub_f32_e32 v21, v122, v43
	;; [unrolled: 1-line block ×3, first 2 shown]
	v_fmac_f32_e32 v32, 0x3f737871, v9
	v_fmac_f32_e32 v39, 0xbf167918, v11
	v_add_f32_e32 v21, v21, v22
	v_fmac_f32_e32 v32, 0x3f167918, v11
	v_fmac_f32_e32 v39, 0x3e9e377a, v21
	;; [unrolled: 1-line block ×3, first 2 shown]
	v_add_f32_e32 v21, v122, v127
	v_fma_f32 v41, -0.5, v21, v96
	v_mov_b32_e32 v42, v41
	v_fmac_f32_e32 v42, 0x3f737871, v11
	v_fmac_f32_e32 v41, 0xbf737871, v11
	;; [unrolled: 1-line block ×4, first 2 shown]
	v_add_f32_e32 v9, v19, v123
	v_add_f32_e32 v9, v9, v101
	;; [unrolled: 1-line block ×5, first 2 shown]
	v_sub_f32_e32 v21, v43, v122
	v_sub_f32_e32 v22, v125, v127
	v_fma_f32 v9, -0.5, v9, v19
	v_add_f32_e32 v21, v21, v22
	v_sub_f32_e32 v11, v34, v98
	v_mov_b32_e32 v43, v9
	v_fmac_f32_e32 v42, 0x3e9e377a, v21
	v_fmac_f32_e32 v41, 0x3e9e377a, v21
	;; [unrolled: 1-line block ×3, first 2 shown]
	v_sub_f32_e32 v21, v124, v126
	v_sub_f32_e32 v22, v123, v101
	;; [unrolled: 1-line block ×3, first 2 shown]
	v_fmac_f32_e32 v9, 0xbf737871, v11
	v_fmac_f32_e32 v43, 0x3f167918, v21
	v_add_f32_e32 v22, v22, v33
	v_fmac_f32_e32 v9, 0xbf167918, v21
	v_fmac_f32_e32 v43, 0x3e9e377a, v22
	;; [unrolled: 1-line block ×3, first 2 shown]
	v_add_f32_e32 v22, v123, v115
	v_mul_f32_e32 v36, v36, v49
	v_fmac_f32_e32 v19, -0.5, v22
	v_fmac_f32_e32 v36, v114, v48
	v_mov_b32_e32 v48, v19
	v_fmac_f32_e32 v48, 0xbf737871, v21
	v_fmac_f32_e32 v19, 0x3f737871, v21
	;; [unrolled: 1-line block ×4, first 2 shown]
	v_add_f32_e32 v11, v20, v34
	v_add_f32_e32 v11, v11, v124
	;; [unrolled: 1-line block ×5, first 2 shown]
	v_fmac_f32_e32 v84, v103, v50
	v_sub_f32_e32 v22, v101, v123
	v_sub_f32_e32 v33, v105, v115
	v_fma_f32 v50, -0.5, v11, v20
	v_add_f32_e32 v22, v22, v33
	v_sub_f32_e32 v11, v123, v115
	v_mov_b32_e32 v51, v50
	v_fmac_f32_e32 v48, 0x3e9e377a, v22
	v_fmac_f32_e32 v19, 0x3e9e377a, v22
	;; [unrolled: 1-line block ×3, first 2 shown]
	v_sub_f32_e32 v21, v101, v105
	v_sub_f32_e32 v22, v34, v124
	;; [unrolled: 1-line block ×3, first 2 shown]
	v_fmac_f32_e32 v50, 0x3f737871, v11
	v_fmac_f32_e32 v51, 0xbf167918, v21
	v_add_f32_e32 v22, v22, v33
	v_fmac_f32_e32 v50, 0x3f167918, v21
	v_fmac_f32_e32 v51, 0x3e9e377a, v22
	;; [unrolled: 1-line block ×3, first 2 shown]
	v_add_f32_e32 v22, v34, v98
	v_fmac_f32_e32 v20, -0.5, v22
	v_mov_b32_e32 v52, v20
	v_fmac_f32_e32 v52, 0x3f737871, v21
	v_sub_f32_e32 v22, v124, v34
	v_sub_f32_e32 v33, v126, v98
	v_fmac_f32_e32 v20, 0xbf737871, v21
	v_fmac_f32_e32 v52, 0xbf167918, v11
	v_add_f32_e32 v22, v22, v33
	v_fmac_f32_e32 v20, 0x3f167918, v11
	v_fmac_f32_e32 v52, 0x3e9e377a, v22
	;; [unrolled: 1-line block ×3, first 2 shown]
	v_mul_f32_e32 v11, 0x3e9e377a, v19
	v_fmac_f32_e32 v38, v116, v92
	v_mul_f32_e32 v92, 0x3f737871, v52
	v_fma_f32 v93, v20, s6, -v11
	v_mul_f32_e32 v95, 0xbf167918, v43
	v_mul_f32_e32 v20, 0x3e9e377a, v20
	;; [unrolled: 1-line block ×3, first 2 shown]
	v_fmac_f32_e32 v92, 0x3e9e377a, v48
	v_mul_f32_e32 v11, 0x3f4f1bbd, v9
	v_fmac_f32_e32 v95, 0x3f4f1bbd, v51
	v_fma_f32 v51, v19, s5, -v20
	v_mul_f32_e32 v19, 0x3f4f1bbd, v50
	v_fmac_f32_e32 v86, v107, v94
	v_add_f32_e32 v21, v28, v92
	v_fma_f32 v94, v50, s7, -v11
	v_fma_f32 v50, v9, s4, -v19
	v_sub_f32_e32 v19, v28, v92
	v_add_f32_e32 v28, v47, v85
	v_add_f32_e32 v33, v12, v40
	;; [unrolled: 1-line block ×3, first 2 shown]
	v_mul_f32_e32 v48, 0xbf737871, v48
	v_add_f32_e32 v74, v41, v51
	v_add_f32_e32 v9, v32, v50
	v_sub_f32_e32 v20, v12, v40
	v_sub_f32_e32 v40, v39, v95
	;; [unrolled: 1-line block ×4, first 2 shown]
	v_fma_f32 v50, -0.5, v28, v10
	v_fmac_f32_e32 v48, 0x3e9e377a, v52
	v_sub_f32_e32 v28, v30, v113
	v_mov_b32_e32 v51, v50
	v_fmac_f32_e32 v37, v112, v73
	v_fmac_f32_e32 v83, v99, v75
	;; [unrolled: 1-line block ×3, first 2 shown]
	v_add_f32_e32 v75, v29, v49
	v_add_f32_e32 v73, v42, v48
	v_sub_f32_e32 v43, v29, v49
	v_sub_f32_e32 v42, v42, v48
	v_fmac_f32_e32 v51, 0x3f737871, v28
	v_sub_f32_e32 v29, v109, v111
	v_sub_f32_e32 v32, v46, v47
	;; [unrolled: 1-line block ×3, first 2 shown]
	v_fmac_f32_e32 v50, 0xbf737871, v28
	v_fmac_f32_e32 v51, 0x3f167918, v29
	v_add_f32_e32 v32, v32, v48
	v_fmac_f32_e32 v50, 0xbf167918, v29
	v_fmac_f32_e32 v51, 0x3e9e377a, v32
	;; [unrolled: 1-line block ×3, first 2 shown]
	v_add_f32_e32 v32, v46, v106
	v_add_f32_e32 v22, v25, v93
	v_sub_f32_e32 v12, v25, v93
	v_add_f32_e32 v25, v10, v46
	v_fmac_f32_e32 v10, -0.5, v32
	v_mov_b32_e32 v52, v10
	v_fmac_f32_e32 v52, 0xbf737871, v29
	v_fmac_f32_e32 v10, 0x3f737871, v29
	;; [unrolled: 1-line block ×4, first 2 shown]
	v_add_f32_e32 v28, v97, v30
	v_add_f32_e32 v28, v28, v109
	;; [unrolled: 1-line block ×4, first 2 shown]
	v_sub_f32_e32 v14, v14, v53
	v_add_f32_e32 v53, v28, v113
	v_add_f32_e32 v28, v109, v111
	v_sub_f32_e32 v32, v47, v46
	v_sub_f32_e32 v48, v85, v106
	v_fma_f32 v92, -0.5, v28, v97
	v_add_f32_e32 v32, v32, v48
	v_sub_f32_e32 v28, v46, v106
	v_mov_b32_e32 v93, v92
	v_fmac_f32_e32 v52, 0x3e9e377a, v32
	v_fmac_f32_e32 v10, 0x3e9e377a, v32
	;; [unrolled: 1-line block ×3, first 2 shown]
	v_sub_f32_e32 v29, v47, v85
	v_sub_f32_e32 v32, v30, v109
	;; [unrolled: 1-line block ×3, first 2 shown]
	v_fmac_f32_e32 v92, 0x3f737871, v28
	v_fmac_f32_e32 v93, 0xbf167918, v29
	v_add_f32_e32 v32, v32, v46
	v_fmac_f32_e32 v92, 0x3f167918, v29
	v_fmac_f32_e32 v93, 0x3e9e377a, v32
	;; [unrolled: 1-line block ×3, first 2 shown]
	v_add_f32_e32 v32, v30, v113
	v_add_f32_e32 v25, v25, v47
	v_fmac_f32_e32 v97, -0.5, v32
	v_add_f32_e32 v25, v25, v85
	v_mov_b32_e32 v85, v97
	v_fmac_f32_e32 v85, 0x3f737871, v29
	v_fmac_f32_e32 v97, 0xbf737871, v29
	v_add_f32_e32 v29, v102, v110
	v_sub_f32_e32 v30, v109, v30
	v_sub_f32_e32 v32, v111, v113
	v_fma_f32 v49, -0.5, v29, v24
	v_fmac_f32_e32 v85, 0xbf167918, v28
	v_add_f32_e32 v30, v30, v32
	v_fmac_f32_e32 v97, 0x3f167918, v28
	v_sub_f32_e32 v29, v44, v120
	v_mov_b32_e32 v46, v49
	v_fmac_f32_e32 v85, 0x3e9e377a, v30
	v_fmac_f32_e32 v97, 0x3e9e377a, v30
	;; [unrolled: 1-line block ×3, first 2 shown]
	v_sub_f32_e32 v30, v31, v27
	v_sub_f32_e32 v32, v23, v102
	v_sub_f32_e32 v47, v117, v110
	v_fmac_f32_e32 v49, 0xbf737871, v29
	v_fmac_f32_e32 v46, 0x3f167918, v30
	v_add_f32_e32 v32, v32, v47
	v_fmac_f32_e32 v49, 0xbf167918, v30
	v_fmac_f32_e32 v46, 0x3e9e377a, v32
	;; [unrolled: 1-line block ×3, first 2 shown]
	v_add_f32_e32 v32, v23, v117
	v_add_f32_e32 v28, v24, v23
	v_fmac_f32_e32 v24, -0.5, v32
	v_mov_b32_e32 v47, v24
	v_fmac_f32_e32 v47, 0xbf737871, v30
	v_fmac_f32_e32 v24, 0x3f737871, v30
	;; [unrolled: 1-line block ×4, first 2 shown]
	v_add_f32_e32 v29, v26, v44
	v_add_f32_e32 v29, v29, v31
	;; [unrolled: 1-line block ×4, first 2 shown]
	v_sub_f32_e32 v13, v13, v94
	v_add_f32_e32 v94, v29, v120
	v_add_f32_e32 v29, v31, v27
	v_sub_f32_e32 v32, v102, v23
	v_sub_f32_e32 v48, v110, v117
	v_fma_f32 v95, -0.5, v29, v26
	v_add_f32_e32 v32, v32, v48
	v_sub_f32_e32 v23, v23, v117
	v_mov_b32_e32 v48, v95
	v_fmac_f32_e32 v47, 0x3e9e377a, v32
	v_fmac_f32_e32 v24, 0x3e9e377a, v32
	;; [unrolled: 1-line block ×3, first 2 shown]
	v_sub_f32_e32 v29, v102, v110
	v_sub_f32_e32 v30, v44, v31
	;; [unrolled: 1-line block ×3, first 2 shown]
	v_fmac_f32_e32 v95, 0x3f737871, v23
	v_fmac_f32_e32 v48, 0xbf167918, v29
	v_add_f32_e32 v30, v30, v32
	v_fmac_f32_e32 v95, 0x3f167918, v29
	v_fmac_f32_e32 v48, 0x3e9e377a, v30
	;; [unrolled: 1-line block ×3, first 2 shown]
	v_add_f32_e32 v30, v44, v120
	v_fmac_f32_e32 v26, -0.5, v30
	v_mov_b32_e32 v96, v26
	v_sub_f32_e32 v30, v31, v44
	v_sub_f32_e32 v27, v27, v120
	v_fmac_f32_e32 v26, 0xbf737871, v29
	v_fmac_f32_e32 v96, 0x3f737871, v29
	v_add_f32_e32 v27, v30, v27
	v_fmac_f32_e32 v26, 0x3f167918, v23
	v_fmac_f32_e32 v96, 0xbf167918, v23
	;; [unrolled: 1-line block ×3, first 2 shown]
	v_mul_f32_e32 v23, 0x3e9e377a, v24
	v_add_f32_e32 v28, v28, v102
	v_fmac_f32_e32 v96, 0x3e9e377a, v27
	v_fma_f32 v99, v26, s6, -v23
	v_mul_f32_e32 v102, 0xbf737871, v47
	v_mul_f32_e32 v26, 0x3e9e377a, v26
	;; [unrolled: 1-line block ×4, first 2 shown]
	v_fmac_f32_e32 v102, 0x3e9e377a, v96
	v_fma_f32 v96, v24, s5, -v26
	v_mul_f32_e32 v24, 0x3f4f1bbd, v95
	v_fma_f32 v100, v95, s7, -v23
	v_fma_f32 v95, v49, s4, -v24
	v_add_f32_e32 v30, v10, v99
	v_add_f32_e32 v44, v53, v94
	v_mul_f32_e32 v101, 0xbf167918, v46
	v_add_f32_e32 v49, v92, v95
	v_sub_f32_e32 v24, v10, v99
	v_sub_f32_e32 v10, v53, v94
	;; [unrolled: 1-line block ×3, first 2 shown]
	v_add_f32_e32 v92, v88, v90
	v_add_f32_e32 v28, v28, v110
	v_mul_f32_e32 v27, 0x3f167918, v48
	v_fmac_f32_e32 v101, 0x3f4f1bbd, v48
	v_fma_f32 v92, -0.5, v92, v5
	v_add_f32_e32 v25, v25, v106
	v_add_f32_e32 v28, v28, v117
	v_fmac_f32_e32 v27, 0x3f4f1bbd, v46
	v_fmac_f32_e32 v98, 0x3e9e377a, v47
	v_add_f32_e32 v23, v50, v100
	v_add_f32_e32 v46, v93, v101
	v_sub_f32_e32 v26, v50, v100
	v_sub_f32_e32 v50, v93, v101
	;; [unrolled: 1-line block ×3, first 2 shown]
	v_mov_b32_e32 v94, v92
	v_add_f32_e32 v31, v25, v28
	v_add_f32_e32 v32, v51, v27
	;; [unrolled: 1-line block ×4, first 2 shown]
	v_sub_f32_e32 v28, v25, v28
	v_sub_f32_e32 v25, v51, v27
	;; [unrolled: 1-line block ×4, first 2 shown]
	v_fmac_f32_e32 v94, 0x3f737871, v93
	v_sub_f32_e32 v95, v84, v86
	v_sub_f32_e32 v96, v87, v88
	;; [unrolled: 1-line block ×3, first 2 shown]
	v_fmac_f32_e32 v92, 0xbf737871, v93
	v_fmac_f32_e32 v94, 0x3f167918, v95
	v_add_f32_e32 v96, v96, v97
	v_fmac_f32_e32 v92, 0xbf167918, v95
	v_fmac_f32_e32 v94, 0x3e9e377a, v96
	;; [unrolled: 1-line block ×3, first 2 shown]
	v_add_f32_e32 v96, v87, v91
	v_add_f32_e32 v47, v85, v102
	v_sub_f32_e32 v51, v85, v102
	v_add_f32_e32 v85, v5, v87
	v_fmac_f32_e32 v5, -0.5, v96
	v_mov_b32_e32 v96, v5
	v_fmac_f32_e32 v96, 0xbf737871, v95
	v_sub_f32_e32 v97, v88, v87
	v_sub_f32_e32 v98, v90, v91
	v_fmac_f32_e32 v5, 0x3f737871, v95
	v_add_f32_e32 v95, v84, v86
	v_add_f32_e32 v85, v85, v88
	v_fmac_f32_e32 v96, 0x3f167918, v93
	v_add_f32_e32 v97, v97, v98
	v_fmac_f32_e32 v5, 0xbf167918, v93
	v_fma_f32 v95, -0.5, v95, v7
	v_add_f32_e32 v85, v85, v90
	v_fmac_f32_e32 v96, 0x3e9e377a, v97
	v_fmac_f32_e32 v5, 0x3e9e377a, v97
	v_sub_f32_e32 v87, v87, v91
	v_mov_b32_e32 v97, v95
	v_add_f32_e32 v85, v85, v91
	v_fmac_f32_e32 v97, 0xbf737871, v87
	v_sub_f32_e32 v88, v88, v90
	v_sub_f32_e32 v90, v83, v84
	;; [unrolled: 1-line block ×3, first 2 shown]
	v_fmac_f32_e32 v95, 0x3f737871, v87
	v_fmac_f32_e32 v97, 0xbf167918, v88
	v_add_f32_e32 v90, v90, v91
	v_fmac_f32_e32 v95, 0x3f167918, v88
	v_add_f32_e32 v93, v7, v83
	v_fmac_f32_e32 v97, 0x3e9e377a, v90
	v_fmac_f32_e32 v95, 0x3e9e377a, v90
	v_add_f32_e32 v90, v83, v89
	v_add_f32_e32 v93, v93, v84
	v_fmac_f32_e32 v7, -0.5, v90
	v_sub_f32_e32 v83, v84, v83
	v_sub_f32_e32 v84, v86, v89
	v_mov_b32_e32 v98, v7
	v_add_f32_e32 v83, v83, v84
	v_add_f32_e32 v84, v80, v81
	v_fmac_f32_e32 v98, 0x3f737871, v88
	v_fmac_f32_e32 v7, 0xbf737871, v88
	v_fma_f32 v84, -0.5, v84, v35
	v_add_f32_e32 v93, v93, v86
	v_fmac_f32_e32 v98, 0xbf167918, v87
	v_fmac_f32_e32 v7, 0x3f167918, v87
	v_sub_f32_e32 v86, v36, v78
	v_mov_b32_e32 v87, v84
	v_add_f32_e32 v93, v93, v89
	v_fmac_f32_e32 v87, 0x3f737871, v86
	v_sub_f32_e32 v88, v38, v77
	v_sub_f32_e32 v89, v79, v80
	;; [unrolled: 1-line block ×3, first 2 shown]
	v_fmac_f32_e32 v84, 0xbf737871, v86
	v_fmac_f32_e32 v87, 0x3f167918, v88
	v_add_f32_e32 v89, v89, v90
	v_fmac_f32_e32 v84, 0xbf167918, v88
	v_fmac_f32_e32 v87, 0x3e9e377a, v89
	;; [unrolled: 1-line block ×3, first 2 shown]
	v_add_f32_e32 v89, v79, v82
	v_fmac_f32_e32 v98, 0x3e9e377a, v83
	v_fmac_f32_e32 v7, 0x3e9e377a, v83
	v_add_f32_e32 v83, v35, v79
	v_fmac_f32_e32 v35, -0.5, v89
	v_mov_b32_e32 v91, v35
	v_add_f32_e32 v83, v83, v80
	v_fmac_f32_e32 v91, 0xbf737871, v88
	v_fmac_f32_e32 v35, 0x3f737871, v88
	v_add_f32_e32 v88, v38, v77
	v_add_f32_e32 v83, v83, v81
	v_fma_f32 v99, -0.5, v88, v37
	v_add_f32_e32 v83, v83, v82
	v_sub_f32_e32 v89, v80, v79
	v_sub_f32_e32 v90, v81, v82
	;; [unrolled: 1-line block ×3, first 2 shown]
	v_mov_b32_e32 v82, v99
	v_fmac_f32_e32 v82, 0xbf737871, v79
	v_sub_f32_e32 v80, v80, v81
	v_sub_f32_e32 v81, v36, v38
	;; [unrolled: 1-line block ×3, first 2 shown]
	v_fmac_f32_e32 v99, 0x3f737871, v79
	v_fmac_f32_e32 v82, 0xbf167918, v80
	v_add_f32_e32 v81, v81, v88
	v_fmac_f32_e32 v99, 0x3f167918, v80
	v_fmac_f32_e32 v82, 0x3e9e377a, v81
	v_fmac_f32_e32 v99, 0x3e9e377a, v81
	v_add_f32_e32 v81, v36, v78
	v_fmac_f32_e32 v91, 0x3f167918, v86
	v_fmac_f32_e32 v35, 0xbf167918, v86
	v_add_f32_e32 v86, v37, v36
	v_fmac_f32_e32 v37, -0.5, v81
	v_mov_b32_e32 v81, v37
	v_add_f32_e32 v89, v89, v90
	v_add_f32_e32 v86, v86, v38
	v_fmac_f32_e32 v81, 0x3f737871, v80
	v_sub_f32_e32 v36, v38, v36
	v_sub_f32_e32 v38, v77, v78
	v_fmac_f32_e32 v37, 0xbf737871, v80
	v_fmac_f32_e32 v35, 0x3e9e377a, v89
	;; [unrolled: 1-line block ×3, first 2 shown]
	v_add_f32_e32 v36, v36, v38
	v_fmac_f32_e32 v37, 0x3f167918, v79
	v_fmac_f32_e32 v81, 0x3e9e377a, v36
	;; [unrolled: 1-line block ×3, first 2 shown]
	v_mul_f32_e32 v36, 0x3e9e377a, v35
	v_fma_f32 v102, v37, s6, -v36
	v_mul_f32_e32 v37, 0x3e9e377a, v37
	v_add_f32_e32 v86, v86, v77
	v_mul_f32_e32 v36, 0x3f4f1bbd, v84
	v_fma_f32 v106, v35, s5, -v37
	v_mul_f32_e32 v35, 0x3f4f1bbd, v99
	v_fmac_f32_e32 v91, 0x3e9e377a, v89
	v_add_f32_e32 v86, v86, v78
	v_mul_f32_e32 v101, 0x3f737871, v81
	v_fma_f32 v103, v99, s7, -v36
	v_add_f32_e32 v80, v7, v106
	v_fma_f32 v99, v84, s4, -v35
	v_sub_f32_e32 v84, v7, v106
	v_mul_u32_u24_e32 v7, 0x168, v17
	v_lshlrev_b32_sdwa v17, v45, v18 dst_sel:DWORD dst_unused:UNUSED_PAD src0_sel:DWORD src1_sel:BYTE_0
	v_fmac_f32_e32 v101, 0x3e9e377a, v91
	v_add_f32_e32 v89, v5, v102
	v_add_f32_e32 v77, v93, v86
	v_mul_f32_e32 v105, 0xbf737871, v91
	v_sub_f32_e32 v91, v5, v102
	v_sub_f32_e32 v5, v93, v86
	v_add3_u32 v86, 0, v7, v17
	v_mul_f32_e32 v100, 0x3f167918, v82
	ds_write2_b32 v86, v33, v34 offset1:9
	ds_write2_b32 v86, v21, v22 offset0:18 offset1:27
	ds_write2_b32 v86, v11, v20 offset0:36 offset1:45
	;; [unrolled: 1-line block ×4, first 2 shown]
	v_mul_u32_u24_e32 v7, 0x168, v15
	v_lshlrev_b32_sdwa v11, v45, v16 dst_sel:DWORD dst_unused:UNUSED_PAD src0_sel:DWORD src1_sel:BYTE_0
	v_fmac_f32_e32 v100, 0x3f4f1bbd, v87
	v_mul_f32_e32 v104, 0xbf167918, v87
	v_add3_u32 v93, 0, v7, v11
	v_lshlrev_b32_e32 v7, 2, v8
	v_add_f32_e32 v88, v85, v83
	v_add_f32_e32 v90, v94, v100
	;; [unrolled: 1-line block ×4, first 2 shown]
	v_fmac_f32_e32 v104, 0x3f4f1bbd, v82
	v_fmac_f32_e32 v105, 0x3e9e377a, v81
	v_sub_f32_e32 v35, v94, v100
	v_sub_f32_e32 v37, v96, v101
	v_add3_u32 v6, 0, v6, v7
	s_movk_i32 s4, 0x5a
	v_add_f32_e32 v78, v97, v104
	v_add_f32_e32 v79, v98, v105
	;; [unrolled: 1-line block ×3, first 2 shown]
	v_sub_f32_e32 v87, v85, v83
	v_sub_f32_e32 v92, v92, v103
	;; [unrolled: 1-line block ×5, first 2 shown]
	ds_write2_b32 v93, v31, v32 offset1:9
	ds_write2_b32 v93, v29, v30 offset0:18 offset1:27
	ds_write2_b32 v93, v23, v28 offset0:36 offset1:45
	ds_write2_b32 v93, v25, v27 offset0:54 offset1:63
	ds_write2_b32 v93, v24, v26 offset0:72 offset1:81
	ds_write2_b32 v6, v88, v90 offset1:9
	ds_write2_b32 v6, v38, v89 offset0:18 offset1:27
	ds_write2_b32 v6, v36, v87 offset0:36 offset1:45
	ds_write2_b32 v6, v35, v37 offset0:54 offset1:63
	ds_write2_b32 v6, v91, v92 offset0:72 offset1:81
	s_waitcnt lgkmcnt(0)
	s_barrier
	ds_read2_b32 v[13:14], v0 offset1:108
	ds_read2_b32 v[7:8], v65 offset0:48 offset1:156
	ds_read2_b32 v[37:38], v59 offset0:56 offset1:164
	;; [unrolled: 1-line block ×14, first 2 shown]
	s_waitcnt lgkmcnt(0)
	s_barrier
	ds_write2_b32 v86, v75, v76 offset1:9
	ds_write2_b32 v86, v73, v74 offset0:18 offset1:27
	ds_write2_b32 v86, v9, v43 offset0:36 offset1:45
	ds_write2_b32 v86, v40, v42 offset0:54 offset1:63
	ds_write2_b32 v86, v39, v41 offset0:72 offset1:81
	ds_write2_b32 v93, v44, v46 offset1:9
	ds_write2_b32 v93, v47, v48 offset0:18 offset1:27
	ds_write2_b32 v93, v49, v10 offset0:36 offset1:45
	ds_write2_b32 v93, v50, v51 offset0:54 offset1:63
	ds_write2_b32 v93, v52, v53 offset0:72 offset1:81
	;; [unrolled: 5-line block ×3, first 2 shown]
	v_add_u32_e32 v5, 0xffffffa6, v66
	v_cmp_gt_u32_e32 vcc, s4, v66
	v_cndmask_b32_e32 v41, v5, v66, vcc
	v_mul_i32_i24_e32 v5, 5, v41
	v_mov_b32_e32 v6, 0
	v_lshlrev_b64 v[9:10], 3, v[5:6]
	v_mov_b32_e32 v5, s13
	v_add_co_u32_e32 v9, vcc, s12, v9
	v_addc_co_u32_e32 v10, vcc, v5, v10, vcc
	s_waitcnt lgkmcnt(0)
	s_barrier
	global_load_dwordx4 v[48:51], v[9:10], off offset:696
	global_load_dwordx4 v[73:76], v[9:10], off offset:712
	s_movk_i32 s4, 0xb7
	v_mul_lo_u16_sdwa v5, v72, s4 dst_sel:DWORD dst_unused:UNUSED_PAD src0_sel:BYTE_0 src1_sel:DWORD
	v_lshrrev_b16_e32 v44, 14, v5
	v_mul_lo_u16_e32 v5, 0x5a, v44
	v_sub_u16_e32 v43, v72, v5
	v_mov_b32_e32 v5, 5
	v_mul_u32_u24_sdwa v5, v43, v5 dst_sel:DWORD dst_unused:UNUSED_PAD src0_sel:BYTE_0 src1_sel:DWORD
	v_lshlrev_b32_e32 v39, 3, v5
	global_load_dwordx4 v[77:80], v39, s[12:13] offset:696
	global_load_dwordx4 v[81:84], v39, s[12:13] offset:712
	s_movk_i32 s6, 0x2d83
	v_mul_u32_u24_sdwa v5, v71, s6 dst_sel:DWORD dst_unused:UNUSED_PAD src0_sel:WORD_0 src1_sel:DWORD
	v_lshrrev_b32_e32 v5, 20, v5
	v_mul_lo_u16_e32 v40, 0x5a, v5
	v_sub_u16_e32 v42, v71, v40
	v_mul_u32_u24_e32 v40, 5, v42
	v_lshlrev_b32_e32 v47, 3, v40
	global_load_dwordx4 v[85:88], v47, s[12:13] offset:696
	global_load_dwordx4 v[89:92], v47, s[12:13] offset:712
	global_load_dwordx2 v[71:72], v[9:10], off offset:728
	global_load_dwordx2 v[105:106], v39, s[12:13] offset:728
	v_mul_u32_u24_sdwa v46, v54, s6 dst_sel:DWORD dst_unused:UNUSED_PAD src0_sel:WORD_0 src1_sel:DWORD
	ds_read2_b32 v[39:40], v0 offset1:108
	ds_read2_b32 v[9:10], v65 offset0:48 offset1:156
	ds_read2_b32 v[107:108], v59 offset0:56 offset1:164
	;; [unrolled: 1-line block ×5, first 2 shown]
	v_lshrrev_b32_e32 v46, 20, v46
	v_mul_lo_u16_e32 v53, 0x5a, v46
	global_load_dwordx2 v[115:116], v47, s[12:13] offset:728
	v_sub_u16_e32 v47, v54, v53
	v_mul_u32_u24_e32 v53, 5, v47
	v_lshlrev_b32_e32 v97, 3, v53
	global_load_dwordx4 v[93:96], v97, s[12:13] offset:696
	v_mul_u32_u24_e32 v5, 0x870, v5
	s_movk_i32 s5, 0x1000
	s_movk_i32 s4, 0x2000
	s_waitcnt vmcnt(9) lgkmcnt(4)
	v_mul_f32_e32 v52, v10, v49
	v_fma_f32 v117, v8, v48, -v52
	v_mul_f32_e32 v118, v8, v49
	s_waitcnt lgkmcnt(3)
	v_mul_f32_e32 v8, v107, v51
	v_fma_f32 v119, v37, v50, -v8
	v_mul_f32_e32 v120, v37, v51
	s_waitcnt vmcnt(8) lgkmcnt(2)
	v_mul_f32_e32 v8, v110, v74
	v_fmac_f32_e32 v120, v107, v50
	v_fma_f32 v50, v22, v73, -v8
	v_mul_u32_u24_sdwa v8, v64, s6 dst_sel:DWORD dst_unused:UNUSED_PAD src0_sel:WORD_0 src1_sel:DWORD
	v_lshrrev_b32_e32 v8, 20, v8
	v_fmac_f32_e32 v118, v10, v48
	v_mul_lo_u16_e32 v10, 0x5a, v8
	global_load_dwordx2 v[48:49], v97, s[12:13] offset:728
	global_load_dwordx4 v[51:54], v97, s[12:13] offset:712
	v_sub_u16_e32 v10, v64, v10
	v_mul_u32_u24_e32 v37, 5, v10
	v_lshlrev_b32_e32 v107, 3, v37
	global_load_dwordx4 v[97:100], v107, s[12:13] offset:712
	global_load_dwordx4 v[101:104], v107, s[12:13] offset:696
	v_mul_f32_e32 v22, v22, v74
	s_waitcnt lgkmcnt(1)
	v_mul_f32_e32 v37, v111, v76
	v_mul_f32_e32 v121, v35, v76
	v_fmac_f32_e32 v22, v110, v73
	v_fma_f32 v110, v35, v75, -v37
	v_fmac_f32_e32 v121, v111, v75
	global_load_dwordx2 v[75:76], v107, s[12:13] offset:728
	ds_read2_b32 v[73:74], v60 offset0:136 offset1:244
	s_waitcnt vmcnt(12)
	v_mul_f32_e32 v35, v108, v80
	v_fma_f32 v111, v38, v79, -v35
	v_mul_f32_e32 v80, v38, v80
	ds_read2_b32 v[37:38], v61 offset0:64 offset1:172
	s_waitcnt lgkmcnt(1)
	v_mul_f32_e32 v35, v73, v78
	v_fmac_f32_e32 v80, v108, v79
	v_fma_f32 v79, v33, v77, -v35
	v_mul_f32_e32 v122, v33, v78
	s_waitcnt vmcnt(11)
	v_mul_f32_e32 v33, v112, v84
	v_fmac_f32_e32 v122, v73, v77
	ds_read2_b32 v[77:78], v62 offset0:120 offset1:228
	v_fma_f32 v123, v36, v83, -v33
	v_mul_f32_e32 v124, v36, v84
	ds_read2_b32 v[107:108], v55 offset0:88 offset1:196
	ds_read2_b32 v[35:36], v56 offset0:16 offset1:124
	s_waitcnt lgkmcnt(3)
	v_mul_f32_e32 v33, v37, v82
	v_fma_f32 v125, v31, v81, -v33
	s_waitcnt vmcnt(10)
	v_mul_f32_e32 v33, v74, v86
	v_fmac_f32_e32 v124, v112, v83
	v_fma_f32 v112, v34, v85, -v33
	v_mul_f32_e32 v126, v34, v86
	s_waitcnt lgkmcnt(0)
	v_mul_f32_e32 v33, v35, v88
	v_fmac_f32_e32 v126, v74, v85
	v_fma_f32 v127, v27, v87, -v33
	ds_read2_b32 v[33:34], v57 offset0:72 offset1:180
	ds_read2_b32 v[73:74], v69 offset0:96 offset1:204
	v_mul_f32_e32 v27, v27, v88
	v_fmac_f32_e32 v27, v35, v87
	s_waitcnt vmcnt(9)
	v_mul_f32_e32 v35, v38, v90
	v_fma_f32 v35, v32, v89, -v35
	v_mul_f32_e32 v128, v32, v90
	s_waitcnt lgkmcnt(1)
	v_mul_f32_e32 v32, v33, v92
	v_mul_f32_e32 v31, v31, v82
	v_fma_f32 v129, v25, v91, -v32
	v_mul_f32_e32 v25, v25, v92
	v_fmac_f32_e32 v31, v37, v81
	v_fmac_f32_e32 v25, v33, v91
	ds_read2_b32 v[32:33], v70 offset0:24 offset1:132
	s_waitcnt vmcnt(8)
	v_mul_f32_e32 v37, v114, v72
	v_fma_f32 v81, v18, v71, -v37
	v_mul_f32_e32 v18, v18, v72
	s_waitcnt vmcnt(7)
	v_mul_f32_e32 v37, v77, v106
	v_fmac_f32_e32 v128, v38, v89
	v_fmac_f32_e32 v18, v114, v71
	v_fma_f32 v71, v29, v105, -v37
	ds_read2_b32 v[37:38], v63 offset0:80 offset1:188
	s_waitcnt vmcnt(6)
	v_mul_f32_e32 v72, v78, v116
	v_mul_f32_e32 v29, v29, v106
	v_fma_f32 v72, v30, v115, -v72
	v_mul_f32_e32 v92, v30, v116
	s_waitcnt vmcnt(5) lgkmcnt(2)
	v_mul_f32_e32 v30, v73, v94
	v_fmac_f32_e32 v29, v77, v105
	v_fma_f32 v105, v23, v93, -v30
	v_mul_f32_e32 v94, v23, v94
	v_mul_f32_e32 v23, v36, v96
	v_fmac_f32_e32 v94, v73, v93
	v_fma_f32 v93, v28, v95, -v23
	v_mul_f32_e32 v28, v28, v96
	v_fmac_f32_e32 v28, v36, v95
	v_fmac_f32_e32 v92, v78, v115
	s_movk_i32 s6, 0x59
	v_cmp_lt_u32_e32 vcc, s6, v66
	s_waitcnt vmcnt(0) lgkmcnt(0)
	s_barrier
	v_mul_u32_u24_e32 v8, 0x870, v8
	v_mul_f32_e32 v114, v15, v49
	v_mul_f32_e32 v23, v32, v52
	v_fma_f32 v95, v19, v51, -v23
	v_mul_f32_e32 v96, v19, v52
	v_mul_f32_e32 v19, v34, v54
	v_fma_f32 v106, v26, v53, -v19
	v_mul_f32_e32 v26, v26, v54
	v_mul_f32_e32 v19, v37, v49
	v_fmac_f32_e32 v26, v34, v53
	v_fma_f32 v34, v15, v48, -v19
	v_mul_f32_e32 v15, v74, v102
	v_fma_f32 v30, v24, v101, -v15
	v_mul_f32_e32 v15, v109, v104
	v_add_f32_e32 v19, v120, v121
	v_fma_f32 v84, v21, v103, -v15
	v_mul_f32_e32 v15, v33, v98
	v_fma_f32 v19, -0.5, v19, v39
	v_mul_f32_e32 v85, v21, v104
	v_fma_f32 v86, v20, v97, -v15
	v_mul_f32_e32 v87, v20, v98
	v_sub_f32_e32 v20, v119, v110
	v_mov_b32_e32 v21, v19
	v_add_f32_e32 v23, v50, v81
	v_fmac_f32_e32 v21, 0xbf5db3d7, v20
	v_fmac_f32_e32 v19, 0x3f5db3d7, v20
	v_add_f32_e32 v20, v117, v50
	v_fmac_f32_e32 v117, -0.5, v23
	v_fmac_f32_e32 v96, v32, v51
	v_mul_f32_e32 v32, v24, v102
	v_sub_f32_e32 v23, v22, v18
	v_mov_b32_e32 v24, v117
	v_mul_f32_e32 v15, v113, v100
	v_fmac_f32_e32 v24, 0x3f5db3d7, v23
	v_fmac_f32_e32 v117, 0xbf5db3d7, v23
	v_add_f32_e32 v23, v118, v22
	v_fma_f32 v90, v17, v99, -v15
	v_mul_f32_e32 v15, v38, v76
	v_add_f32_e32 v23, v23, v18
	v_add_f32_e32 v18, v22, v18
	v_fma_f32 v88, v16, v75, -v15
	v_mul_f32_e32 v89, v16, v76
	v_add_f32_e32 v16, v119, v110
	v_fmac_f32_e32 v118, -0.5, v18
	v_add_f32_e32 v15, v13, v119
	v_fma_f32 v13, -0.5, v16, v13
	v_sub_f32_e32 v18, v50, v81
	v_mov_b32_e32 v22, v118
	v_fmac_f32_e32 v87, v33, v97
	v_mul_f32_e32 v91, v17, v100
	v_add_f32_e32 v15, v15, v110
	v_sub_f32_e32 v16, v120, v121
	v_mov_b32_e32 v17, v13
	v_add_f32_e32 v20, v20, v81
	v_fmac_f32_e32 v22, 0xbf5db3d7, v18
	v_fmac_f32_e32 v118, 0x3f5db3d7, v18
	v_mul_f32_e32 v33, -0.5, v117
	v_fmac_f32_e32 v114, v37, v48
	v_fmac_f32_e32 v17, 0x3f5db3d7, v16
	;; [unrolled: 1-line block ×3, first 2 shown]
	v_add_f32_e32 v16, v39, v120
	v_add_f32_e32 v48, v15, v20
	v_mul_f32_e32 v18, 0x3f5db3d7, v22
	v_fmac_f32_e32 v33, 0x3f5db3d7, v118
	v_sub_f32_e32 v39, v15, v20
	v_add_f32_e32 v15, v111, v123
	v_fmac_f32_e32 v89, v38, v75
	v_add_f32_e32 v16, v16, v121
	v_fmac_f32_e32 v18, 0.5, v24
	v_add_f32_e32 v36, v13, v33
	v_mul_f32_e32 v24, 0xbf5db3d7, v24
	v_sub_f32_e32 v38, v13, v33
	v_add_f32_e32 v13, v14, v111
	v_fmac_f32_e32 v14, -0.5, v15
	v_add_f32_e32 v49, v17, v18
	v_add_f32_e32 v77, v16, v23
	v_fmac_f32_e32 v24, 0.5, v22
	v_mul_f32_e32 v22, -0.5, v118
	v_sub_f32_e32 v37, v17, v18
	v_sub_f32_e32 v76, v16, v23
	;; [unrolled: 1-line block ×3, first 2 shown]
	v_mov_b32_e32 v16, v14
	v_add_f32_e32 v17, v80, v124
	v_fmac_f32_e32 v22, 0xbf5db3d7, v117
	v_fmac_f32_e32 v16, 0x3f5db3d7, v15
	;; [unrolled: 1-line block ×3, first 2 shown]
	v_add_f32_e32 v15, v40, v80
	v_fmac_f32_e32 v40, -0.5, v17
	v_add_f32_e32 v73, v19, v22
	v_sub_f32_e32 v75, v19, v22
	v_sub_f32_e32 v17, v111, v123
	v_mov_b32_e32 v18, v40
	v_add_f32_e32 v19, v125, v71
	v_fmac_f32_e32 v18, 0xbf5db3d7, v17
	v_fmac_f32_e32 v40, 0x3f5db3d7, v17
	v_add_f32_e32 v17, v79, v125
	v_fmac_f32_e32 v79, -0.5, v19
	v_fmac_f32_e32 v32, v74, v101
	v_add_f32_e32 v78, v21, v24
	v_sub_f32_e32 v74, v21, v24
	v_sub_f32_e32 v19, v31, v29
	v_mov_b32_e32 v20, v79
	v_add_f32_e32 v21, v31, v29
	v_fmac_f32_e32 v20, 0x3f5db3d7, v19
	v_fmac_f32_e32 v79, 0xbf5db3d7, v19
	v_add_f32_e32 v19, v122, v31
	v_fmac_f32_e32 v122, -0.5, v21
	v_sub_f32_e32 v21, v125, v71
	v_add_f32_e32 v13, v13, v123
	v_add_f32_e32 v17, v17, v71
	v_mov_b32_e32 v22, v122
	v_fmac_f32_e32 v122, 0x3f5db3d7, v21
	v_mul_f32_e32 v23, -0.5, v79
	v_fmac_f32_e32 v22, 0xbf5db3d7, v21
	v_add_f32_e32 v50, v13, v17
	v_fmac_f32_e32 v23, 0x3f5db3d7, v122
	v_sub_f32_e32 v83, v13, v17
	v_add_f32_e32 v13, v11, v127
	v_add_f32_e32 v15, v15, v124
	;; [unrolled: 1-line block ×3, first 2 shown]
	v_mul_f32_e32 v21, 0x3f5db3d7, v22
	v_add_f32_e32 v51, v14, v23
	v_sub_f32_e32 v54, v14, v23
	v_add_f32_e32 v14, v13, v129
	v_add_f32_e32 v13, v127, v129
	v_fmac_f32_e32 v21, 0.5, v20
	v_add_f32_e32 v81, v15, v19
	v_sub_f32_e32 v80, v15, v19
	v_fma_f32 v15, -0.5, v13, v11
	v_add_f32_e32 v52, v16, v21
	v_sub_f32_e32 v53, v16, v21
	v_sub_f32_e32 v11, v27, v25
	v_mov_b32_e32 v16, v15
	v_mul_f32_e32 v20, 0xbf5db3d7, v20
	v_fmac_f32_e32 v16, 0x3f5db3d7, v11
	v_fmac_f32_e32 v15, 0xbf5db3d7, v11
	v_add_f32_e32 v11, v107, v27
	v_fmac_f32_e32 v20, 0.5, v22
	v_mul_f32_e32 v22, -0.5, v122
	v_add_f32_e32 v17, v11, v25
	v_add_f32_e32 v11, v27, v25
	v_fmac_f32_e32 v22, 0xbf5db3d7, v79
	v_fma_f32 v21, -0.5, v11, v107
	v_add_f32_e32 v79, v40, v22
	v_sub_f32_e32 v24, v40, v22
	v_sub_f32_e32 v11, v127, v129
	v_mov_b32_e32 v22, v21
	v_fmac_f32_e32 v22, 0xbf5db3d7, v11
	v_fmac_f32_e32 v21, 0x3f5db3d7, v11
	v_add_f32_e32 v11, v112, v35
	v_add_f32_e32 v82, v18, v20
	v_sub_f32_e32 v23, v18, v20
	v_add_f32_e32 v18, v11, v72
	v_add_f32_e32 v11, v35, v72
	v_fmac_f32_e32 v112, -0.5, v11
	v_sub_f32_e32 v11, v128, v92
	v_mov_b32_e32 v27, v112
	v_fmac_f32_e32 v27, 0x3f5db3d7, v11
	v_fmac_f32_e32 v112, 0xbf5db3d7, v11
	v_add_f32_e32 v11, v126, v128
	v_add_f32_e32 v29, v11, v92
	;; [unrolled: 1-line block ×3, first 2 shown]
	v_fmac_f32_e32 v126, -0.5, v11
	v_sub_f32_e32 v11, v35, v72
	v_mov_b32_e32 v31, v126
	v_fmac_f32_e32 v31, 0xbf5db3d7, v11
	v_fmac_f32_e32 v126, 0x3f5db3d7, v11
	v_mul_f32_e32 v40, 0xbf5db3d7, v27
	v_mul_f32_e32 v33, 0x3f5db3d7, v31
	v_fmac_f32_e32 v40, 0.5, v31
	v_mul_f32_e32 v31, -0.5, v126
	v_fmac_f32_e32 v33, 0.5, v27
	v_fmac_f32_e32 v31, 0xbf5db3d7, v112
	v_add_f32_e32 v19, v14, v18
	v_add_f32_e32 v20, v16, v33
	;; [unrolled: 1-line block ×5, first 2 shown]
	v_sub_f32_e32 v18, v14, v18
	v_sub_f32_e32 v14, v16, v33
	;; [unrolled: 1-line block ×5, first 2 shown]
	v_add_f32_e32 v21, v12, v93
	v_add_f32_e32 v31, v21, v106
	;; [unrolled: 1-line block ×3, first 2 shown]
	v_fmac_f32_e32 v12, -0.5, v21
	v_sub_f32_e32 v21, v28, v26
	v_mov_b32_e32 v40, v12
	v_fmac_f32_e32 v40, 0x3f5db3d7, v21
	v_fmac_f32_e32 v12, 0xbf5db3d7, v21
	v_add_f32_e32 v21, v108, v28
	v_add_f32_e32 v71, v21, v26
	;; [unrolled: 1-line block ×3, first 2 shown]
	v_fmac_f32_e32 v108, -0.5, v21
	v_sub_f32_e32 v21, v93, v106
	v_mov_b32_e32 v72, v108
	v_fmac_f32_e32 v72, 0xbf5db3d7, v21
	v_fmac_f32_e32 v108, 0x3f5db3d7, v21
	v_add_f32_e32 v21, v105, v95
	v_mul_f32_e32 v35, -0.5, v112
	v_add_f32_e32 v33, v21, v34
	v_add_f32_e32 v21, v95, v34
	v_fmac_f32_e32 v35, 0x3f5db3d7, v126
	v_fmac_f32_e32 v105, -0.5, v21
	v_add_f32_e32 v13, v15, v35
	v_sub_f32_e32 v15, v15, v35
	v_sub_f32_e32 v21, v96, v114
	v_mov_b32_e32 v35, v105
	v_fmac_f32_e32 v35, 0x3f5db3d7, v21
	v_fmac_f32_e32 v105, 0xbf5db3d7, v21
	v_add_f32_e32 v21, v94, v96
	v_add_f32_e32 v92, v21, v114
	;; [unrolled: 1-line block ×3, first 2 shown]
	v_fmac_f32_e32 v94, -0.5, v21
	v_sub_f32_e32 v21, v95, v34
	v_mov_b32_e32 v34, v94
	v_fmac_f32_e32 v34, 0xbf5db3d7, v21
	v_mul_f32_e32 v93, 0x3f5db3d7, v34
	v_fmac_f32_e32 v94, 0x3f5db3d7, v21
	v_fmac_f32_e32 v93, 0.5, v35
	v_mul_f32_e32 v95, -0.5, v105
	v_add_f32_e32 v21, v31, v33
	v_add_f32_e32 v29, v40, v93
	v_fmac_f32_e32 v95, 0x3f5db3d7, v94
	v_mul_f32_e32 v96, 0xbf5db3d7, v35
	v_mul_f32_e32 v94, -0.5, v94
	v_sub_f32_e32 v33, v31, v33
	v_sub_f32_e32 v31, v40, v93
	v_add_f32_e32 v93, v84, v90
	v_fmac_f32_e32 v85, v109, v103
	v_fmac_f32_e32 v91, v113, v99
	v_add_f32_e32 v26, v71, v92
	v_fmac_f32_e32 v96, 0.5, v34
	v_fmac_f32_e32 v94, 0xbf5db3d7, v105
	v_sub_f32_e32 v40, v71, v92
	v_add_f32_e32 v92, v7, v84
	v_fmac_f32_e32 v7, -0.5, v93
	v_add_f32_e32 v34, v72, v96
	v_add_f32_e32 v35, v108, v94
	v_sub_f32_e32 v71, v72, v96
	v_sub_f32_e32 v72, v108, v94
	;; [unrolled: 1-line block ×3, first 2 shown]
	v_mov_b32_e32 v94, v7
	v_fmac_f32_e32 v94, 0x3f5db3d7, v93
	v_fmac_f32_e32 v7, 0xbf5db3d7, v93
	v_add_f32_e32 v93, v9, v85
	v_add_f32_e32 v85, v85, v91
	v_fmac_f32_e32 v9, -0.5, v85
	v_add_f32_e32 v92, v92, v90
	v_sub_f32_e32 v84, v84, v90
	v_mov_b32_e32 v90, v9
	v_fmac_f32_e32 v90, 0xbf5db3d7, v84
	v_fmac_f32_e32 v9, 0x3f5db3d7, v84
	v_add_f32_e32 v84, v30, v86
	v_add_f32_e32 v93, v93, v91
	;; [unrolled: 1-line block ×4, first 2 shown]
	v_fmac_f32_e32 v30, -0.5, v84
	v_sub_f32_e32 v84, v87, v89
	v_mov_b32_e32 v85, v30
	v_fmac_f32_e32 v85, 0x3f5db3d7, v84
	v_fmac_f32_e32 v30, 0xbf5db3d7, v84
	v_add_f32_e32 v84, v32, v87
	v_add_f32_e32 v28, v12, v95
	v_sub_f32_e32 v12, v12, v95
	v_add_f32_e32 v95, v84, v89
	v_add_f32_e32 v84, v87, v89
	v_fmac_f32_e32 v32, -0.5, v84
	v_sub_f32_e32 v84, v86, v88
	v_mov_b32_e32 v86, v32
	v_fmac_f32_e32 v32, 0x3f5db3d7, v84
	v_mul_f32_e32 v88, -0.5, v30
	v_fmac_f32_e32 v86, 0xbf5db3d7, v84
	v_fmac_f32_e32 v88, 0x3f5db3d7, v32
	v_mul_f32_e32 v89, 0xbf5db3d7, v85
	v_mul_f32_e32 v32, -0.5, v32
	v_mul_f32_e32 v87, 0x3f5db3d7, v86
	v_fmac_f32_e32 v89, 0.5, v86
	v_fmac_f32_e32 v32, 0xbf5db3d7, v30
	v_fmac_f32_e32 v87, 0.5, v85
	v_add_f32_e32 v98, v7, v88
	v_add_f32_e32 v85, v90, v89
	v_add_f32_e32 v86, v9, v32
	v_sub_f32_e32 v7, v7, v88
	v_sub_f32_e32 v88, v90, v89
	;; [unrolled: 1-line block ×3, first 2 shown]
	v_mov_b32_e32 v9, 0x870
	v_cndmask_b32_e32 v9, 0, v9, vcc
	v_lshlrev_b32_e32 v32, 2, v41
	v_add3_u32 v41, 0, v9, v32
	v_mul_u32_u24_e32 v9, 0x870, v44
	v_lshlrev_b32_sdwa v32, v45, v43 dst_sel:DWORD dst_unused:UNUSED_PAD src0_sel:DWORD src1_sel:BYTE_0
	v_add3_u32 v43, 0, v9, v32
	v_lshlrev_b32_e32 v9, 2, v42
	v_add3_u32 v5, 0, v5, v9
	v_add_f32_e32 v96, v92, v91
	v_sub_f32_e32 v30, v92, v91
	v_add_u32_e32 v90, 0x200, v41
	v_add_u32_e32 v92, 0x400, v41
	;; [unrolled: 1-line block ×5, first 2 shown]
	ds_write2_b32 v41, v48, v49 offset1:90
	ds_write2_b32 v90, v36, v39 offset0:52 offset1:142
	ds_write2_b32 v92, v37, v38 offset0:104 offset1:194
	ds_write2_b32 v43, v50, v52 offset1:90
	ds_write2_b32 v44, v51, v83 offset0:52 offset1:142
	ds_write2_b32 v45, v53, v54 offset0:104 offset1:194
	;; [unrolled: 1-line block ×3, first 2 shown]
	v_mul_u32_u24_e32 v9, 0x870, v46
	v_lshlrev_b32_e32 v13, 2, v47
	v_add3_u32 v46, 0, v9, v13
	v_lshlrev_b32_e32 v9, 2, v10
	v_add_f32_e32 v97, v94, v87
	v_add_f32_e32 v84, v93, v95
	v_sub_f32_e32 v91, v94, v87
	v_sub_f32_e32 v87, v93, v95
	v_add_u32_e32 v83, 0x400, v5
	v_add_u32_e32 v93, 0x200, v46
	v_add_u32_e32 v94, 0x400, v46
	v_add3_u32 v95, 0, v8, v9
	ds_write2_b32 v5, v19, v20 offset1:90
	ds_write2_b32 v83, v14, v15 offset0:104 offset1:194
	ds_write2_b32 v46, v21, v29 offset1:90
	ds_write2_b32 v93, v28, v33 offset0:52 offset1:142
	ds_write2_b32 v94, v31, v12 offset0:104 offset1:194
	ds_write2_b32 v95, v96, v97 offset1:90
	v_add_u32_e32 v96, 0x200, v95
	v_add_u32_e32 v97, 0x400, v95
	ds_write2_b32 v96, v98, v30 offset0:52 offset1:142
	ds_write2_b32 v97, v91, v7 offset0:104 offset1:194
	s_waitcnt lgkmcnt(0)
	s_barrier
	ds_read2_b32 v[7:8], v0 offset1:108
	ds_read2_b32 v[9:10], v65 offset0:48 offset1:156
	ds_read2_b32 v[20:21], v59 offset0:56 offset1:164
	;; [unrolled: 1-line block ×14, first 2 shown]
	s_waitcnt lgkmcnt(0)
	s_barrier
	ds_write2_b32 v41, v77, v78 offset1:90
	ds_write2_b32 v90, v73, v76 offset0:52 offset1:142
	ds_write2_b32 v92, v74, v75 offset0:104 offset1:194
	ds_write2_b32 v43, v81, v82 offset1:90
	ds_write2_b32 v44, v79, v80 offset0:52 offset1:142
	ds_write2_b32 v45, v23, v24 offset0:104 offset1:194
	;; [unrolled: 3-line block ×5, first 2 shown]
	s_waitcnt lgkmcnt(0)
	s_barrier
	s_and_saveexec_b64 s[6:7], s[0:1]
	s_cbranch_execz .LBB0_15
; %bb.14:
	v_mul_u32_u24_e32 v5, 5, v64
	v_lshlrev_b32_e32 v5, 3, v5
	v_mov_b32_e32 v71, s13
	v_add_co_u32_e32 v5, vcc, s12, v5
	v_addc_co_u32_e32 v11, vcc, 0, v71, vcc
	v_add_co_u32_e32 v16, vcc, 0x10c8, v5
	v_addc_co_u32_e32 v17, vcc, 0, v11, vcc
	global_load_dwordx2 v[26:27], v[16:17], off offset:32
	global_load_dwordx4 v[22:25], v[16:17], off offset:16
	v_add_co_u32_e32 v16, vcc, 0x1000, v5
	v_addc_co_u32_e32 v17, vcc, 0, v11, vcc
	v_mul_lo_u32 v11, s3, v3
	v_mad_u64_u32 v[34:35], s[0:1], s2, v3, 0
	v_mov_b32_e32 v3, 0xfffffde4
	global_load_dwordx4 v[72:75], v[16:17], off offset:200
	v_mad_u32_u24 v5, v64, 5, v3
	v_mul_lo_u32 v16, s2, v4
	v_lshlrev_b64 v[3:4], 3, v[5:6]
	s_movk_i32 s0, 0x10c8
	v_add_co_u32_e32 v5, vcc, s12, v3
	v_addc_co_u32_e32 v17, vcc, v71, v4, vcc
	v_add_co_u32_e32 v3, vcc, s5, v5
	v_addc_co_u32_e32 v4, vcc, 0, v17, vcc
	ds_read2_b32 v[43:44], v67 offset0:104 offset1:212
	ds_read2_b32 v[45:46], v68 offset0:32 offset1:140
	;; [unrolled: 1-line block ×5, first 2 shown]
	global_load_dwordx4 v[67:70], v[3:4], off offset:200
	v_add_co_u32_e32 v3, vcc, s0, v5
	v_addc_co_u32_e32 v4, vcc, 0, v17, vcc
	global_load_dwordx4 v[76:79], v[3:4], off offset:16
	global_load_dwordx2 v[90:91], v[3:4], off offset:32
	ds_read2_b32 v[88:89], v63 offset0:80 offset1:188
	v_add3_u32 v35, v35, v16, v11
	ds_read2_b32 v[92:93], v56 offset0:16 offset1:124
	ds_read2_b32 v[94:95], v57 offset0:72 offset1:180
	;; [unrolled: 1-line block ×3, first 2 shown]
	v_lshlrev_b64 v[34:35], 3, v[34:35]
	s_movk_i32 s1, 0x3000
	s_waitcnt vmcnt(5) lgkmcnt(3)
	v_mul_f32_e32 v11, v27, v89
	s_waitcnt vmcnt(4)
	v_mul_f32_e32 v5, v24, v45
	v_mul_f32_e32 v16, v22, v87
	;; [unrolled: 1-line block ×4, first 2 shown]
	v_fmac_f32_e32 v5, v12, v25
	v_fma_f32 v25, v48, v26, -v11
	v_fmac_f32_e32 v16, v54, v23
	v_fmac_f32_e32 v17, v48, v27
	v_fma_f32 v24, v12, v24, -v3
	s_waitcnt vmcnt(3)
	v_mul_f32_e32 v11, v72, v85
	v_mul_f32_e32 v40, v75, v43
	;; [unrolled: 1-line block ×3, first 2 shown]
	v_fmac_f32_e32 v11, v39, v73
	v_add_f32_e32 v27, v16, v17
	v_mul_f32_e32 v4, v23, v87
	v_fma_f32 v23, v14, v74, -v40
	v_fmac_f32_e32 v3, v14, v75
	v_fma_f32 v27, -0.5, v27, v11
	v_add_f32_e32 v11, v11, v16
	v_mul_f32_e32 v12, v73, v85
	v_fma_f32 v22, v54, v22, -v4
	v_add_f32_e32 v40, v3, v5
	v_add_f32_e32 v63, v11, v17
	;; [unrolled: 1-line block ×3, first 2 shown]
	v_fma_f32 v14, v39, v72, -v12
	v_add_f32_e32 v4, v22, v25
	v_sub_f32_e32 v26, v22, v25
	v_fma_f32 v40, -0.5, v40, v41
	v_add_f32_e32 v41, v3, v41
	v_fma_f32 v65, -0.5, v11, v9
	v_sub_f32_e32 v12, v16, v17
	v_fma_f32 v43, -0.5, v4, v14
	v_mov_b32_e32 v48, v27
	v_fmac_f32_e32 v27, 0xbf5db3d7, v26
	v_add_f32_e32 v41, v5, v41
	v_sub_f32_e32 v5, v3, v5
	v_mov_b32_e32 v72, v65
	v_mov_b32_e32 v45, v43
	v_fmac_f32_e32 v43, 0x3f5db3d7, v12
	v_fmac_f32_e32 v72, 0xbf5db3d7, v5
	;; [unrolled: 1-line block ×3, first 2 shown]
	v_mul_f32_e32 v5, 0x3f5db3d7, v27
	v_sub_f32_e32 v39, v23, v24
	v_fmac_f32_e32 v48, 0x3f5db3d7, v26
	v_mul_f32_e32 v26, 0xbf5db3d7, v43
	v_fmac_f32_e32 v5, 0.5, v43
	v_add_f32_e32 v9, v9, v23
	v_add_f32_e32 v14, v14, v22
	v_mov_b32_e32 v54, v40
	v_fmac_f32_e32 v40, 0xbf5db3d7, v39
	v_fmac_f32_e32 v26, 0.5, v27
	v_sub_f32_e32 v11, v65, v5
	v_add_f32_e32 v9, v9, v24
	v_add_f32_e32 v14, v14, v25
	;; [unrolled: 1-line block ×3, first 2 shown]
	s_waitcnt vmcnt(2) lgkmcnt(2)
	v_mul_f32_e32 v5, v70, v93
	v_fmac_f32_e32 v45, 0xbf5db3d7, v12
	v_sub_f32_e32 v12, v40, v26
	v_sub_f32_e32 v16, v9, v14
	v_add_f32_e32 v25, v40, v26
	v_add_f32_e32 v26, v9, v14
	v_fma_f32 v9, v52, v69, -v5
	s_waitcnt vmcnt(1) lgkmcnt(1)
	v_mul_f32_e32 v5, v79, v95
	v_fmac_f32_e32 v54, 0x3f5db3d7, v39
	v_mul_f32_e32 v39, -0.5, v48
	v_fma_f32 v14, v50, v78, -v5
	v_mov_b32_e32 v5, 0xfffffbc8
	v_fmac_f32_e32 v39, 0xbf5db3d7, v45
	v_mad_u32_u24 v5, v64, 5, v5
	v_sub_f32_e32 v4, v54, v39
	v_add_f32_e32 v23, v54, v39
	v_lshlrev_b64 v[39:40], 3, v[5:6]
	v_mul_f32_e32 v45, -0.5, v45
	v_fmac_f32_e32 v45, 0x3f5db3d7, v48
	v_add_co_u32_e32 v5, vcc, s12, v39
	v_sub_f32_e32 v3, v72, v45
	v_add_f32_e32 v22, v72, v45
	v_addc_co_u32_e32 v45, vcc, v71, v40, vcc
	v_add_co_u32_e32 v39, vcc, s0, v5
	v_addc_co_u32_e32 v40, vcc, 0, v45, vcc
	v_add_co_u32_e32 v54, vcc, s5, v5
	v_addc_co_u32_e32 v55, vcc, 0, v45, vcc
	global_load_dwordx4 v[72:75], v[54:55], off offset:200
	global_load_dwordx2 v[98:99], v[39:40], off offset:32
	global_load_dwordx4 v[80:83], v[39:40], off offset:16
	v_mul_f32_e32 v43, v69, v93
	v_mul_f32_e32 v5, v78, v95
	v_fmac_f32_e32 v43, v52, v70
	v_fmac_f32_e32 v5, v50, v79
	v_add_f32_e32 v39, v43, v5
	s_waitcnt lgkmcnt(0)
	v_fma_f32 v45, -0.5, v39, v97
	v_mul_f32_e32 v39, v68, v84
	v_fma_f32 v52, v38, v67, -v39
	v_mul_f32_e32 v39, v77, v86
	v_fma_f32 v54, v53, v76, -v39
	s_waitcnt vmcnt(3)
	v_mul_f32_e32 v39, v91, v88
	v_fma_f32 v55, v47, v90, -v39
	v_mul_f32_e32 v48, v76, v86
	v_add_f32_e32 v39, v54, v55
	v_fmac_f32_e32 v48, v53, v77
	v_mul_f32_e32 v53, v90, v88
	v_fma_f32 v40, -0.5, v39, v52
	v_fmac_f32_e32 v53, v47, v91
	v_sub_f32_e32 v17, v41, v63
	v_add_f32_e32 v27, v41, v63
	v_sub_f32_e32 v47, v48, v53
	v_mov_b32_e32 v56, v40
	v_mul_f32_e32 v63, v67, v84
	v_fmac_f32_e32 v56, 0xbf5db3d7, v47
	v_fmac_f32_e32 v63, v38, v68
	;; [unrolled: 1-line block ×3, first 2 shown]
	v_add_f32_e32 v47, v43, v97
	v_add_f32_e32 v38, v48, v53
	;; [unrolled: 1-line block ×4, first 2 shown]
	v_fma_f32 v65, -0.5, v38, v63
	v_add_f32_e32 v63, v47, v53
	v_add_f32_e32 v47, v9, v14
	v_sub_f32_e32 v57, v54, v55
	v_fma_f32 v69, -0.5, v47, v37
	v_mov_b32_e32 v38, v65
	v_fmac_f32_e32 v65, 0xbf5db3d7, v57
	v_sub_f32_e32 v5, v43, v5
	v_mov_b32_e32 v43, v69
	v_fmac_f32_e32 v43, 0xbf5db3d7, v5
	v_fmac_f32_e32 v69, 0x3f5db3d7, v5
	v_mul_f32_e32 v5, 0x3f5db3d7, v65
	v_sub_f32_e32 v41, v9, v14
	v_fmac_f32_e32 v5, 0.5, v40
	v_add_f32_e32 v9, v37, v9
	v_fmac_f32_e32 v38, 0x3f5db3d7, v57
	v_mul_f32_e32 v57, 0xbf5db3d7, v40
	v_sub_f32_e32 v40, v69, v5
	v_add_f32_e32 v9, v9, v14
	v_add_f32_e32 v14, v52, v54
	;; [unrolled: 1-line block ×3, first 2 shown]
	v_mov_b32_e32 v5, 0xfffff9ac
	v_mov_b32_e32 v50, v45
	v_fmac_f32_e32 v45, 0xbf5db3d7, v41
	v_fmac_f32_e32 v57, 0.5, v65
	v_mad_u32_u24 v5, v64, 5, v5
	v_fmac_f32_e32 v50, 0x3f5db3d7, v41
	v_mul_f32_e32 v67, -0.5, v38
	v_sub_f32_e32 v41, v45, v57
	v_sub_f32_e32 v48, v68, v63
	v_add_f32_e32 v14, v14, v55
	v_add_f32_e32 v55, v45, v57
	;; [unrolled: 1-line block ×3, first 2 shown]
	v_lshlrev_b64 v[63:64], 3, v[5:6]
	v_fmac_f32_e32 v67, 0xbf5db3d7, v56
	v_mul_f32_e32 v56, -0.5, v56
	v_fmac_f32_e32 v56, 0x3f5db3d7, v38
	v_add_co_u32_e32 v5, vcc, s12, v63
	v_sub_f32_e32 v38, v43, v56
	v_sub_f32_e32 v47, v9, v14
	v_add_f32_e32 v52, v43, v56
	v_add_f32_e32 v56, v9, v14
	v_addc_co_u32_e32 v9, vcc, v71, v64, vcc
	v_add_co_u32_e32 v64, vcc, s0, v5
	s_waitcnt vmcnt(2)
	v_mul_f32_e32 v14, v75, v92
	v_mul_f32_e32 v45, v74, v92
	v_addc_co_u32_e32 v65, vcc, 0, v9, vcc
	v_fma_f32 v14, v51, v74, -v14
	s_waitcnt vmcnt(0)
	v_mul_f32_e32 v37, v83, v94
	v_fmac_f32_e32 v45, v51, v75
	v_mul_f32_e32 v51, v82, v94
	v_sub_f32_e32 v39, v50, v67
	v_add_f32_e32 v53, v50, v67
	global_load_dwordx4 v[67:70], v[64:65], off offset:16
	v_fma_f32 v43, v49, v82, -v37
	v_fmac_f32_e32 v51, v49, v83
	ds_read2_b32 v[82:83], v60 offset0:136 offset1:244
	ds_read2_b32 v[84:85], v61 offset0:64 offset1:172
	;; [unrolled: 1-line block ×3, first 2 shown]
	v_add_f32_e32 v49, v45, v51
	v_fma_f32 v74, -0.5, v49, v96
	v_add_co_u32_e32 v49, vcc, s5, v5
	v_addc_co_u32_e32 v50, vcc, 0, v9, vcc
	global_load_dwordx4 v[60:63], v[49:50], off offset:200
	s_waitcnt lgkmcnt(1)
	v_mul_f32_e32 v9, v81, v85
	global_load_dwordx2 v[64:65], v[64:65], off offset:32
	s_waitcnt lgkmcnt(0)
	v_mul_f32_e32 v49, v99, v87
	v_mul_f32_e32 v5, v73, v83
	v_fma_f32 v9, v33, v80, -v9
	v_fma_f32 v76, v31, v98, -v49
	;; [unrolled: 1-line block ×3, first 2 shown]
	v_add_f32_e32 v49, v9, v76
	v_fma_f32 v77, -0.5, v49, v5
	v_mul_f32_e32 v49, v80, v85
	v_fmac_f32_e32 v49, v33, v81
	v_mul_f32_e32 v33, v98, v87
	v_fmac_f32_e32 v33, v31, v99
	v_mul_f32_e32 v72, v72, v83
	v_sub_f32_e32 v31, v49, v33
	v_fmac_f32_e32 v72, v29, v73
	v_add_f32_e32 v29, v49, v33
	v_mov_b32_e32 v78, v77
	v_sub_f32_e32 v79, v9, v76
	v_fma_f32 v29, -0.5, v29, v72
	v_fmac_f32_e32 v77, 0x3f5db3d7, v31
	v_add_f32_e32 v5, v5, v9
	v_mul_u32_u24_e32 v9, 5, v66
	v_sub_f32_e32 v37, v14, v43
	v_fmac_f32_e32 v78, 0xbf5db3d7, v31
	v_mov_b32_e32 v73, v29
	v_fmac_f32_e32 v29, 0xbf5db3d7, v79
	v_mul_f32_e32 v31, 0xbf5db3d7, v77
	v_lshlrev_b32_e32 v9, 3, v9
	v_mov_b32_e32 v75, v74
	v_fmac_f32_e32 v74, 0xbf5db3d7, v37
	v_fmac_f32_e32 v31, 0.5, v29
	v_add_co_u32_e32 v9, vcc, s12, v9
	v_sub_f32_e32 v80, v74, v31
	v_add_f32_e32 v90, v74, v31
	v_addc_co_u32_e32 v31, vcc, 0, v71, vcc
	v_add_co_u32_e32 v95, vcc, s0, v9
	v_fmac_f32_e32 v75, 0x3f5db3d7, v37
	v_fmac_f32_e32 v73, 0x3f5db3d7, v79
	v_add_f32_e32 v37, v45, v96
	v_addc_co_u32_e32 v96, vcc, 0, v31, vcc
	v_mul_f32_e32 v81, -0.5, v73
	v_add_co_u32_e32 v97, vcc, s5, v9
	v_fmac_f32_e32 v81, 0xbf5db3d7, v78
	v_mul_f32_e32 v87, -0.5, v78
	v_mul_f32_e32 v29, 0x3f5db3d7, v29
	v_addc_co_u32_e32 v98, vcc, 0, v31, vcc
	v_sub_f32_e32 v50, v75, v81
	v_add_f32_e32 v83, v51, v37
	v_add_f32_e32 v37, v72, v49
	v_fmac_f32_e32 v87, 0x3f5db3d7, v73
	v_fmac_f32_e32 v29, 0.5, v77
	v_add_f32_e32 v5, v5, v76
	v_add_f32_e32 v88, v75, v81
	ds_read2_b32 v[93:94], v59 offset0:56 offset1:164
	global_load_dwordx4 v[71:74], v[97:98], off offset:200
	global_load_dwordx2 v[99:100], v[95:96], off offset:32
	global_load_dwordx4 v[75:78], v[95:96], off offset:16
	v_add_f32_e32 v49, v14, v43
	v_fma_f32 v85, -0.5, v49, v36
	v_sub_f32_e32 v45, v45, v51
	ds_read2_b32 v[58:59], v58 offset0:112 offset1:220
	v_mov_b32_e32 v51, v85
	v_fmac_f32_e32 v85, 0x3f5db3d7, v45
	v_sub_f32_e32 v79, v85, v29
	v_add_f32_e32 v14, v36, v14
	v_add_f32_e32 v89, v85, v29
	;; [unrolled: 1-line block ×3, first 2 shown]
	ds_read2_b32 v[95:96], v0 offset1:108
	v_fmac_f32_e32 v51, 0xbf5db3d7, v45
	v_sub_f32_e32 v36, v14, v5
	v_add_f32_e32 v91, v14, v5
	v_sub_f32_e32 v49, v51, v87
	v_add_f32_e32 v87, v51, v87
	s_waitcnt vmcnt(5) lgkmcnt(1)
	v_mul_f32_e32 v9, v70, v59
	s_waitcnt vmcnt(4)
	v_mul_f32_e32 v29, v61, v82
	v_fma_f32 v43, v28, v60, -v29
	v_mul_f32_e32 v29, v68, v84
	v_mul_f32_e32 v5, v63, v94
	;; [unrolled: 1-line block ×3, first 2 shown]
	v_fma_f32 v45, v32, v67, -v29
	s_waitcnt vmcnt(3)
	v_mul_f32_e32 v29, v65, v86
	v_fma_f32 v5, v21, v62, -v5
	v_fmac_f32_e32 v0, v21, v63
	v_mul_f32_e32 v21, v69, v59
	v_fma_f32 v51, v30, v64, -v29
	v_mul_f32_e32 v62, v67, v84
	v_fmac_f32_e32 v21, v19, v70
	v_add_f32_e32 v29, v45, v51
	v_fmac_f32_e32 v62, v32, v68
	v_mul_f32_e32 v32, v64, v86
	v_fma_f32 v14, v19, v69, -v9
	v_add_f32_e32 v19, v0, v21
	v_fma_f32 v59, -0.5, v29, v43
	v_fmac_f32_e32 v32, v30, v65
	v_add_f32_e32 v33, v37, v33
	s_waitcnt lgkmcnt(0)
	v_fma_f32 v19, -0.5, v19, v96
	v_sub_f32_e32 v30, v62, v32
	v_mov_b32_e32 v63, v59
	v_mul_f32_e32 v60, v60, v82
	v_sub_f32_e32 v37, v83, v33
	v_add_f32_e32 v92, v83, v33
	v_sub_f32_e32 v9, v5, v14
	v_mov_b32_e32 v33, v19
	v_fmac_f32_e32 v63, 0xbf5db3d7, v30
	v_fmac_f32_e32 v60, v28, v61
	v_add_f32_e32 v28, v62, v32
	v_fmac_f32_e32 v59, 0x3f5db3d7, v30
	v_add_f32_e32 v30, v5, v14
	v_fmac_f32_e32 v33, 0x3f5db3d7, v9
	v_sub_f32_e32 v31, v45, v51
	v_fma_f32 v61, -0.5, v28, v60
	v_fmac_f32_e32 v19, 0xbf5db3d7, v9
	v_add_f32_e32 v9, v0, v96
	v_fma_f32 v68, -0.5, v30, v8
	v_mov_b32_e32 v28, v61
	v_fmac_f32_e32 v61, 0xbf5db3d7, v31
	v_add_f32_e32 v67, v21, v9
	v_sub_f32_e32 v0, v0, v21
	v_mov_b32_e32 v21, v68
	v_fmac_f32_e32 v21, 0xbf5db3d7, v0
	v_fmac_f32_e32 v68, 0x3f5db3d7, v0
	v_mul_f32_e32 v0, 0x3f5db3d7, v61
	v_fmac_f32_e32 v0, 0.5, v59
	v_mul_f32_e32 v65, 0xbf5db3d7, v59
	v_sub_f32_e32 v30, v68, v0
	v_add_f32_e32 v5, v8, v5
	v_add_f32_e32 v8, v43, v45
	;; [unrolled: 1-line block ×3, first 2 shown]
	v_fmac_f32_e32 v28, 0x3f5db3d7, v31
	v_add_f32_e32 v5, v5, v14
	v_add_f32_e32 v14, v8, v51
	v_mul_f32_e32 v64, -0.5, v28
	v_fmac_f32_e32 v65, 0.5, v61
	v_sub_f32_e32 v8, v5, v14
	s_waitcnt vmcnt(2)
	v_mul_f32_e32 v0, v74, v93
	v_mul_f32_e32 v43, v73, v93
	v_fma_f32 v0, v20, v73, -v0
	v_fmac_f32_e32 v43, v20, v74
	s_waitcnt vmcnt(0)
	v_mul_f32_e32 v20, v77, v58
	v_fmac_f32_e32 v20, v18, v78
	v_add_f32_e32 v61, v5, v14
	v_add_f32_e32 v14, v43, v20
	v_fmac_f32_e32 v64, 0xbf5db3d7, v63
	v_add_f32_e32 v9, v60, v62
	v_mul_f32_e32 v63, -0.5, v63
	v_fma_f32 v45, -0.5, v14, v95
	v_mul_f32_e32 v14, v72, v42
	v_add_f32_e32 v32, v9, v32
	v_fmac_f32_e32 v63, 0x3f5db3d7, v28
	v_mul_f32_e32 v5, v78, v58
	v_fma_f32 v58, v10, v71, -v14
	v_mul_f32_e32 v14, v76, v44
	v_sub_f32_e32 v9, v67, v32
	v_sub_f32_e32 v28, v21, v63
	v_add_f32_e32 v62, v67, v32
	v_add_f32_e32 v32, v21, v63
	v_fma_f32 v63, v15, v75, -v14
	v_mul_f32_e32 v14, v100, v46
	v_sub_f32_e32 v29, v33, v64
	v_add_f32_e32 v33, v33, v64
	v_fma_f32 v64, v13, v99, -v14
	v_mul_f32_e32 v21, v75, v44
	v_add_f32_e32 v14, v63, v64
	v_fmac_f32_e32 v21, v15, v76
	v_mul_f32_e32 v15, v99, v46
	v_fma_f32 v5, v18, v77, -v5
	v_fma_f32 v18, -0.5, v14, v58
	v_fmac_f32_e32 v15, v13, v100
	v_sub_f32_e32 v13, v21, v15
	v_mov_b32_e32 v44, v18
	v_mul_f32_e32 v42, v71, v42
	v_fmac_f32_e32 v44, 0xbf5db3d7, v13
	v_fmac_f32_e32 v42, v10, v72
	;; [unrolled: 1-line block ×3, first 2 shown]
	v_add_f32_e32 v13, v43, v95
	v_add_f32_e32 v68, v20, v13
	;; [unrolled: 1-line block ×6, first 2 shown]
	s_mov_b32 s0, 0xf2b9d649
	v_sub_f32_e32 v31, v19, v65
	v_add_f32_e32 v60, v19, v65
	v_sub_f32_e32 v19, v0, v5
	v_fma_f32 v69, -0.5, v13, v7
	v_add_f32_e32 v0, v7, v0
	v_mul_hi_u32 v7, v66, s0
	v_fma_f32 v10, -0.5, v10, v42
	v_sub_f32_e32 v46, v63, v64
	v_mov_b32_e32 v65, v10
	v_add_f32_e32 v0, v0, v5
	v_add_f32_e32 v5, v58, v63
	v_fmac_f32_e32 v65, 0x3f5db3d7, v46
	v_sub_f32_e32 v20, v43, v20
	v_mov_b32_e32 v42, v69
	v_add_f32_e32 v5, v5, v64
	v_mul_f32_e32 v67, -0.5, v65
	v_fmac_f32_e32 v10, 0xbf5db3d7, v46
	v_mul_f32_e32 v46, 0xbf5db3d7, v18
	v_fmac_f32_e32 v42, 0xbf5db3d7, v20
	v_fmac_f32_e32 v69, 0x3f5db3d7, v20
	v_sub_f32_e32 v20, v0, v5
	v_add_f32_e32 v63, v0, v5
	v_lshrrev_b32_e32 v0, 9, v7
	v_fmac_f32_e32 v67, 0xbf5db3d7, v44
	v_fmac_f32_e32 v46, 0.5, v10
	v_mul_f32_e32 v44, -0.5, v44
	v_mul_f32_e32 v10, 0x3f5db3d7, v10
	v_mul_u32_u24_e32 v0, 0x21c, v0
	v_fmac_f32_e32 v44, 0x3f5db3d7, v65
	v_fmac_f32_e32 v10, 0.5, v18
	v_sub_u32_e32 v5, v66, v0
	v_mov_b32_e32 v0, s11
	v_add_co_u32_e32 v7, vcc, s10, v34
	v_sub_f32_e32 v13, v42, v44
	v_sub_f32_e32 v18, v69, v10
	v_add_f32_e32 v42, v42, v44
	v_add_f32_e32 v44, v69, v10
	v_addc_co_u32_e32 v10, vcc, v0, v35, vcc
	v_lshlrev_b64 v[0:1], 3, v[1:2]
	v_mov_b32_e32 v51, v45
	v_add_co_u32_e32 v2, vcc, v7, v0
	v_addc_co_u32_e32 v7, vcc, v10, v1, vcc
	v_lshlrev_b32_e32 v0, 3, v5
	v_add_co_u32_e32 v0, vcc, v2, v0
	v_addc_co_u32_e32 v1, vcc, 0, v7, vcc
	v_fmac_f32_e32 v45, 0xbf5db3d7, v19
	v_add_co_u32_e32 v34, vcc, s5, v0
	v_fmac_f32_e32 v51, 0x3f5db3d7, v19
	v_sub_f32_e32 v19, v45, v46
	v_add_f32_e32 v45, v45, v46
	v_addc_co_u32_e32 v35, vcc, 0, v1, vcc
	global_store_dwordx2 v[34:35], v[44:45], off offset:224
	v_add_co_u32_e32 v34, vcc, s4, v0
	v_add_f32_e32 v43, v51, v67
	v_addc_co_u32_e32 v35, vcc, 0, v1, vcc
	global_store_dwordx2 v[34:35], v[42:43], off offset:448
	v_add_co_u32_e32 v34, vcc, s1, v0
	v_sub_f32_e32 v21, v68, v15
	v_addc_co_u32_e32 v35, vcc, 0, v1, vcc
	s_movk_i32 s1, 0x4000
	v_add_u32_e32 v5, 0x6c, v66
	global_store_dwordx2 v[34:35], v[20:21], off offset:672
	v_add_co_u32_e32 v20, vcc, s1, v0
	v_mul_hi_u32 v10, v5, s0
	v_add_f32_e32 v64, v68, v15
	v_addc_co_u32_e32 v21, vcc, 0, v1, vcc
	s_movk_i32 s1, 0x5000
	global_store_dwordx2 v[0:1], v[63:64], off
	v_add_co_u32_e32 v0, vcc, s1, v0
	v_sub_f32_e32 v14, v51, v67
	v_addc_co_u32_e32 v1, vcc, 0, v1, vcc
	global_store_dwordx2 v[0:1], v[13:14], off offset:1120
	v_lshrrev_b32_e32 v0, 9, v10
	v_mul_u32_u24_e32 v1, 0x21c, v0
	v_sub_u32_e32 v1, v5, v1
	s_movk_i32 s1, 0xca8
	v_mad_u32_u24 v5, v0, s1, v1
	v_lshlrev_b64 v[0:1], 3, v[5:6]
	global_store_dwordx2 v[20:21], v[18:19], off offset:896
	v_add_co_u32_e32 v0, vcc, v2, v0
	v_addc_co_u32_e32 v1, vcc, v7, v1, vcc
	global_store_dwordx2 v[0:1], v[61:62], off
	v_add_u32_e32 v0, 0x21c, v5
	v_mov_b32_e32 v1, v6
	v_lshlrev_b64 v[0:1], 3, v[0:1]
	v_add_co_u32_e32 v0, vcc, v2, v0
	v_addc_co_u32_e32 v1, vcc, v7, v1, vcc
	global_store_dwordx2 v[0:1], v[59:60], off
	v_add_u32_e32 v0, 0x438, v5
	v_mov_b32_e32 v1, v6
	v_lshlrev_b64 v[0:1], 3, v[0:1]
	v_add_co_u32_e32 v0, vcc, v2, v0
	v_addc_co_u32_e32 v1, vcc, v7, v1, vcc
	global_store_dwordx2 v[0:1], v[32:33], off
	v_add_u32_e32 v0, 0x654, v5
	v_mov_b32_e32 v1, v6
	v_lshlrev_b64 v[0:1], 3, v[0:1]
	v_add_co_u32_e32 v0, vcc, v2, v0
	v_addc_co_u32_e32 v1, vcc, v7, v1, vcc
	global_store_dwordx2 v[0:1], v[8:9], off
	v_add_u32_e32 v0, 0x870, v5
	v_mov_b32_e32 v1, v6
	v_lshlrev_b64 v[0:1], 3, v[0:1]
	v_add_u32_e32 v5, 0xa8c, v5
	v_add_co_u32_e32 v0, vcc, v2, v0
	v_addc_co_u32_e32 v1, vcc, v7, v1, vcc
	global_store_dwordx2 v[0:1], v[30:31], off
	v_lshlrev_b64 v[0:1], 3, v[5:6]
	v_add_u32_e32 v5, 0xd8, v66
	v_mul_hi_u32 v8, v5, s0
	v_add_co_u32_e32 v0, vcc, v2, v0
	v_addc_co_u32_e32 v1, vcc, v7, v1, vcc
	global_store_dwordx2 v[0:1], v[28:29], off
	v_lshrrev_b32_e32 v0, 9, v8
	v_mul_u32_u24_e32 v1, 0x21c, v0
	v_sub_u32_e32 v1, v5, v1
	v_mad_u32_u24 v5, v0, s1, v1
	v_lshlrev_b64 v[0:1], 3, v[5:6]
	v_add_co_u32_e32 v0, vcc, v2, v0
	v_addc_co_u32_e32 v1, vcc, v7, v1, vcc
	global_store_dwordx2 v[0:1], v[91:92], off
	v_add_u32_e32 v0, 0x21c, v5
	v_mov_b32_e32 v1, v6
	v_lshlrev_b64 v[0:1], 3, v[0:1]
	v_add_co_u32_e32 v0, vcc, v2, v0
	v_addc_co_u32_e32 v1, vcc, v7, v1, vcc
	global_store_dwordx2 v[0:1], v[89:90], off
	v_add_u32_e32 v0, 0x438, v5
	v_mov_b32_e32 v1, v6
	v_lshlrev_b64 v[0:1], 3, v[0:1]
	v_add_co_u32_e32 v0, vcc, v2, v0
	v_addc_co_u32_e32 v1, vcc, v7, v1, vcc
	global_store_dwordx2 v[0:1], v[87:88], off
	v_add_u32_e32 v0, 0x654, v5
	v_mov_b32_e32 v1, v6
	v_lshlrev_b64 v[0:1], 3, v[0:1]
	v_add_co_u32_e32 v0, vcc, v2, v0
	v_addc_co_u32_e32 v1, vcc, v7, v1, vcc
	global_store_dwordx2 v[0:1], v[36:37], off
	v_add_u32_e32 v0, 0x870, v5
	v_mov_b32_e32 v1, v6
	v_lshlrev_b64 v[0:1], 3, v[0:1]
	v_add_u32_e32 v5, 0xa8c, v5
	v_add_co_u32_e32 v0, vcc, v2, v0
	v_addc_co_u32_e32 v1, vcc, v7, v1, vcc
	global_store_dwordx2 v[0:1], v[79:80], off
	v_lshlrev_b64 v[0:1], 3, v[5:6]
	v_add_u32_e32 v5, 0x144, v66
	v_mul_hi_u32 v8, v5, s0
	v_add_co_u32_e32 v0, vcc, v2, v0
	v_addc_co_u32_e32 v1, vcc, v7, v1, vcc
	global_store_dwordx2 v[0:1], v[49:50], off
	v_lshrrev_b32_e32 v0, 9, v8
	v_mul_u32_u24_e32 v1, 0x21c, v0
	v_sub_u32_e32 v1, v5, v1
	v_mad_u32_u24 v5, v0, s1, v1
	v_lshlrev_b64 v[0:1], 3, v[5:6]
	;; [unrolled: 39-line block ×3, first 2 shown]
	v_add_co_u32_e32 v0, vcc, v2, v0
	v_addc_co_u32_e32 v1, vcc, v7, v1, vcc
	global_store_dwordx2 v[0:1], v[26:27], off
	v_add_u32_e32 v0, 0x21c, v5
	v_mov_b32_e32 v1, v6
	v_lshlrev_b64 v[0:1], 3, v[0:1]
	v_add_co_u32_e32 v0, vcc, v2, v0
	v_addc_co_u32_e32 v1, vcc, v7, v1, vcc
	global_store_dwordx2 v[0:1], v[24:25], off
	v_add_u32_e32 v0, 0x438, v5
	v_mov_b32_e32 v1, v6
	v_lshlrev_b64 v[0:1], 3, v[0:1]
	;; [unrolled: 6-line block ×4, first 2 shown]
	v_add_u32_e32 v5, 0xa8c, v5
	v_add_co_u32_e32 v0, vcc, v2, v0
	v_addc_co_u32_e32 v1, vcc, v7, v1, vcc
	global_store_dwordx2 v[0:1], v[11:12], off
	v_lshlrev_b64 v[0:1], 3, v[5:6]
	v_add_co_u32_e32 v0, vcc, v2, v0
	v_addc_co_u32_e32 v1, vcc, v7, v1, vcc
	global_store_dwordx2 v[0:1], v[3:4], off
.LBB0_15:
	s_endpgm
	.section	.rodata,"a",@progbits
	.p2align	6, 0x0
	.amdhsa_kernel fft_rtc_fwd_len3240_factors_3_3_10_6_6_wgs_108_tpt_108_halfLds_sp_op_CI_CI_unitstride_sbrr_dirReg
		.amdhsa_group_segment_fixed_size 0
		.amdhsa_private_segment_fixed_size 0
		.amdhsa_kernarg_size 104
		.amdhsa_user_sgpr_count 6
		.amdhsa_user_sgpr_private_segment_buffer 1
		.amdhsa_user_sgpr_dispatch_ptr 0
		.amdhsa_user_sgpr_queue_ptr 0
		.amdhsa_user_sgpr_kernarg_segment_ptr 1
		.amdhsa_user_sgpr_dispatch_id 0
		.amdhsa_user_sgpr_flat_scratch_init 0
		.amdhsa_user_sgpr_private_segment_size 0
		.amdhsa_uses_dynamic_stack 0
		.amdhsa_system_sgpr_private_segment_wavefront_offset 0
		.amdhsa_system_sgpr_workgroup_id_x 1
		.amdhsa_system_sgpr_workgroup_id_y 0
		.amdhsa_system_sgpr_workgroup_id_z 0
		.amdhsa_system_sgpr_workgroup_info 0
		.amdhsa_system_vgpr_workitem_id 0
		.amdhsa_next_free_vgpr 138
		.amdhsa_next_free_sgpr 28
		.amdhsa_reserve_vcc 1
		.amdhsa_reserve_flat_scratch 0
		.amdhsa_float_round_mode_32 0
		.amdhsa_float_round_mode_16_64 0
		.amdhsa_float_denorm_mode_32 3
		.amdhsa_float_denorm_mode_16_64 3
		.amdhsa_dx10_clamp 1
		.amdhsa_ieee_mode 1
		.amdhsa_fp16_overflow 0
		.amdhsa_exception_fp_ieee_invalid_op 0
		.amdhsa_exception_fp_denorm_src 0
		.amdhsa_exception_fp_ieee_div_zero 0
		.amdhsa_exception_fp_ieee_overflow 0
		.amdhsa_exception_fp_ieee_underflow 0
		.amdhsa_exception_fp_ieee_inexact 0
		.amdhsa_exception_int_div_zero 0
	.end_amdhsa_kernel
	.text
.Lfunc_end0:
	.size	fft_rtc_fwd_len3240_factors_3_3_10_6_6_wgs_108_tpt_108_halfLds_sp_op_CI_CI_unitstride_sbrr_dirReg, .Lfunc_end0-fft_rtc_fwd_len3240_factors_3_3_10_6_6_wgs_108_tpt_108_halfLds_sp_op_CI_CI_unitstride_sbrr_dirReg
                                        ; -- End function
	.section	.AMDGPU.csdata,"",@progbits
; Kernel info:
; codeLenInByte = 16172
; NumSgprs: 32
; NumVgprs: 138
; ScratchSize: 0
; MemoryBound: 0
; FloatMode: 240
; IeeeMode: 1
; LDSByteSize: 0 bytes/workgroup (compile time only)
; SGPRBlocks: 3
; VGPRBlocks: 34
; NumSGPRsForWavesPerEU: 32
; NumVGPRsForWavesPerEU: 138
; Occupancy: 1
; WaveLimiterHint : 1
; COMPUTE_PGM_RSRC2:SCRATCH_EN: 0
; COMPUTE_PGM_RSRC2:USER_SGPR: 6
; COMPUTE_PGM_RSRC2:TRAP_HANDLER: 0
; COMPUTE_PGM_RSRC2:TGID_X_EN: 1
; COMPUTE_PGM_RSRC2:TGID_Y_EN: 0
; COMPUTE_PGM_RSRC2:TGID_Z_EN: 0
; COMPUTE_PGM_RSRC2:TIDIG_COMP_CNT: 0
	.type	__hip_cuid_5fa39e5f02e11892,@object ; @__hip_cuid_5fa39e5f02e11892
	.section	.bss,"aw",@nobits
	.globl	__hip_cuid_5fa39e5f02e11892
__hip_cuid_5fa39e5f02e11892:
	.byte	0                               ; 0x0
	.size	__hip_cuid_5fa39e5f02e11892, 1

	.ident	"AMD clang version 19.0.0git (https://github.com/RadeonOpenCompute/llvm-project roc-6.4.0 25133 c7fe45cf4b819c5991fe208aaa96edf142730f1d)"
	.section	".note.GNU-stack","",@progbits
	.addrsig
	.addrsig_sym __hip_cuid_5fa39e5f02e11892
	.amdgpu_metadata
---
amdhsa.kernels:
  - .args:
      - .actual_access:  read_only
        .address_space:  global
        .offset:         0
        .size:           8
        .value_kind:     global_buffer
      - .offset:         8
        .size:           8
        .value_kind:     by_value
      - .actual_access:  read_only
        .address_space:  global
        .offset:         16
        .size:           8
        .value_kind:     global_buffer
      - .actual_access:  read_only
        .address_space:  global
        .offset:         24
        .size:           8
        .value_kind:     global_buffer
      - .actual_access:  read_only
        .address_space:  global
        .offset:         32
        .size:           8
        .value_kind:     global_buffer
      - .offset:         40
        .size:           8
        .value_kind:     by_value
      - .actual_access:  read_only
        .address_space:  global
        .offset:         48
        .size:           8
        .value_kind:     global_buffer
      - .actual_access:  read_only
        .address_space:  global
        .offset:         56
        .size:           8
        .value_kind:     global_buffer
      - .offset:         64
        .size:           4
        .value_kind:     by_value
      - .actual_access:  read_only
        .address_space:  global
        .offset:         72
        .size:           8
        .value_kind:     global_buffer
      - .actual_access:  read_only
        .address_space:  global
        .offset:         80
        .size:           8
        .value_kind:     global_buffer
      - .actual_access:  read_only
        .address_space:  global
        .offset:         88
        .size:           8
        .value_kind:     global_buffer
      - .actual_access:  write_only
        .address_space:  global
        .offset:         96
        .size:           8
        .value_kind:     global_buffer
    .group_segment_fixed_size: 0
    .kernarg_segment_align: 8
    .kernarg_segment_size: 104
    .language:       OpenCL C
    .language_version:
      - 2
      - 0
    .max_flat_workgroup_size: 108
    .name:           fft_rtc_fwd_len3240_factors_3_3_10_6_6_wgs_108_tpt_108_halfLds_sp_op_CI_CI_unitstride_sbrr_dirReg
    .private_segment_fixed_size: 0
    .sgpr_count:     32
    .sgpr_spill_count: 0
    .symbol:         fft_rtc_fwd_len3240_factors_3_3_10_6_6_wgs_108_tpt_108_halfLds_sp_op_CI_CI_unitstride_sbrr_dirReg.kd
    .uniform_work_group_size: 1
    .uses_dynamic_stack: false
    .vgpr_count:     138
    .vgpr_spill_count: 0
    .wavefront_size: 64
amdhsa.target:   amdgcn-amd-amdhsa--gfx906
amdhsa.version:
  - 1
  - 2
...

	.end_amdgpu_metadata
